;; amdgpu-corpus repo=ROCm/rocFFT kind=compiled arch=gfx1030 opt=O3
	.text
	.amdgcn_target "amdgcn-amd-amdhsa--gfx1030"
	.amdhsa_code_object_version 6
	.protected	fft_rtc_fwd_len1734_factors_17_17_6_wgs_102_tpt_102_halfLds_dp_ip_CI_unitstride_sbrr_R2C_dirReg ; -- Begin function fft_rtc_fwd_len1734_factors_17_17_6_wgs_102_tpt_102_halfLds_dp_ip_CI_unitstride_sbrr_R2C_dirReg
	.globl	fft_rtc_fwd_len1734_factors_17_17_6_wgs_102_tpt_102_halfLds_dp_ip_CI_unitstride_sbrr_R2C_dirReg
	.p2align	8
	.type	fft_rtc_fwd_len1734_factors_17_17_6_wgs_102_tpt_102_halfLds_dp_ip_CI_unitstride_sbrr_R2C_dirReg,@function
fft_rtc_fwd_len1734_factors_17_17_6_wgs_102_tpt_102_halfLds_dp_ip_CI_unitstride_sbrr_R2C_dirReg: ; @fft_rtc_fwd_len1734_factors_17_17_6_wgs_102_tpt_102_halfLds_dp_ip_CI_unitstride_sbrr_R2C_dirReg
; %bb.0:
	s_clause 0x2
	s_load_dwordx4 s[8:11], s[4:5], 0x0
	s_load_dwordx2 s[2:3], s[4:5], 0x50
	s_load_dwordx2 s[12:13], s[4:5], 0x18
	v_mul_u32_u24_e32 v1, 0x283, v0
	v_mov_b32_e32 v3, 0
	v_add_nc_u32_sdwa v5, s6, v1 dst_sel:DWORD dst_unused:UNUSED_PAD src0_sel:DWORD src1_sel:WORD_1
	v_mov_b32_e32 v1, 0
	v_mov_b32_e32 v6, v3
	v_mov_b32_e32 v2, 0
	s_waitcnt lgkmcnt(0)
	v_cmp_lt_u64_e64 s0, s[10:11], 2
	s_and_b32 vcc_lo, exec_lo, s0
	s_cbranch_vccnz .LBB0_8
; %bb.1:
	s_load_dwordx2 s[0:1], s[4:5], 0x10
	v_mov_b32_e32 v1, 0
	s_add_u32 s6, s12, 8
	v_mov_b32_e32 v2, 0
	s_addc_u32 s7, s13, 0
	s_mov_b64 s[16:17], 1
	s_waitcnt lgkmcnt(0)
	s_add_u32 s14, s0, 8
	s_addc_u32 s15, s1, 0
.LBB0_2:                                ; =>This Inner Loop Header: Depth=1
	s_load_dwordx2 s[18:19], s[14:15], 0x0
                                        ; implicit-def: $vgpr7_vgpr8
	s_mov_b32 s0, exec_lo
	s_waitcnt lgkmcnt(0)
	v_or_b32_e32 v4, s19, v6
	v_cmpx_ne_u64_e32 0, v[3:4]
	s_xor_b32 s1, exec_lo, s0
	s_cbranch_execz .LBB0_4
; %bb.3:                                ;   in Loop: Header=BB0_2 Depth=1
	v_cvt_f32_u32_e32 v4, s18
	v_cvt_f32_u32_e32 v7, s19
	s_sub_u32 s0, 0, s18
	s_subb_u32 s20, 0, s19
	v_fmac_f32_e32 v4, 0x4f800000, v7
	v_rcp_f32_e32 v4, v4
	v_mul_f32_e32 v4, 0x5f7ffffc, v4
	v_mul_f32_e32 v7, 0x2f800000, v4
	v_trunc_f32_e32 v7, v7
	v_fmac_f32_e32 v4, 0xcf800000, v7
	v_cvt_u32_f32_e32 v7, v7
	v_cvt_u32_f32_e32 v4, v4
	v_mul_lo_u32 v8, s0, v7
	v_mul_hi_u32 v9, s0, v4
	v_mul_lo_u32 v10, s20, v4
	v_add_nc_u32_e32 v8, v9, v8
	v_mul_lo_u32 v9, s0, v4
	v_add_nc_u32_e32 v8, v8, v10
	v_mul_hi_u32 v10, v4, v9
	v_mul_lo_u32 v11, v4, v8
	v_mul_hi_u32 v12, v4, v8
	v_mul_hi_u32 v13, v7, v9
	v_mul_lo_u32 v9, v7, v9
	v_mul_hi_u32 v14, v7, v8
	v_mul_lo_u32 v8, v7, v8
	v_add_co_u32 v10, vcc_lo, v10, v11
	v_add_co_ci_u32_e32 v11, vcc_lo, 0, v12, vcc_lo
	v_add_co_u32 v9, vcc_lo, v10, v9
	v_add_co_ci_u32_e32 v9, vcc_lo, v11, v13, vcc_lo
	v_add_co_ci_u32_e32 v10, vcc_lo, 0, v14, vcc_lo
	v_add_co_u32 v8, vcc_lo, v9, v8
	v_add_co_ci_u32_e32 v9, vcc_lo, 0, v10, vcc_lo
	v_add_co_u32 v4, vcc_lo, v4, v8
	v_add_co_ci_u32_e32 v7, vcc_lo, v7, v9, vcc_lo
	v_mul_hi_u32 v8, s0, v4
	v_mul_lo_u32 v10, s20, v4
	v_mul_lo_u32 v9, s0, v7
	v_add_nc_u32_e32 v8, v8, v9
	v_mul_lo_u32 v9, s0, v4
	v_add_nc_u32_e32 v8, v8, v10
	v_mul_hi_u32 v10, v4, v9
	v_mul_lo_u32 v11, v4, v8
	v_mul_hi_u32 v12, v4, v8
	v_mul_hi_u32 v13, v7, v9
	v_mul_lo_u32 v9, v7, v9
	v_mul_hi_u32 v14, v7, v8
	v_mul_lo_u32 v8, v7, v8
	v_add_co_u32 v10, vcc_lo, v10, v11
	v_add_co_ci_u32_e32 v11, vcc_lo, 0, v12, vcc_lo
	v_add_co_u32 v9, vcc_lo, v10, v9
	v_add_co_ci_u32_e32 v9, vcc_lo, v11, v13, vcc_lo
	v_add_co_ci_u32_e32 v10, vcc_lo, 0, v14, vcc_lo
	v_add_co_u32 v8, vcc_lo, v9, v8
	v_add_co_ci_u32_e32 v9, vcc_lo, 0, v10, vcc_lo
	v_add_co_u32 v4, vcc_lo, v4, v8
	v_add_co_ci_u32_e32 v11, vcc_lo, v7, v9, vcc_lo
	v_mul_hi_u32 v13, v5, v4
	v_mad_u64_u32 v[9:10], null, v6, v4, 0
	v_mad_u64_u32 v[7:8], null, v5, v11, 0
	;; [unrolled: 1-line block ×3, first 2 shown]
	v_add_co_u32 v4, vcc_lo, v13, v7
	v_add_co_ci_u32_e32 v7, vcc_lo, 0, v8, vcc_lo
	v_add_co_u32 v4, vcc_lo, v4, v9
	v_add_co_ci_u32_e32 v4, vcc_lo, v7, v10, vcc_lo
	v_add_co_ci_u32_e32 v7, vcc_lo, 0, v12, vcc_lo
	v_add_co_u32 v4, vcc_lo, v4, v11
	v_add_co_ci_u32_e32 v9, vcc_lo, 0, v7, vcc_lo
	v_mul_lo_u32 v10, s19, v4
	v_mad_u64_u32 v[7:8], null, s18, v4, 0
	v_mul_lo_u32 v11, s18, v9
	v_sub_co_u32 v7, vcc_lo, v5, v7
	v_add3_u32 v8, v8, v11, v10
	v_sub_nc_u32_e32 v10, v6, v8
	v_subrev_co_ci_u32_e64 v10, s0, s19, v10, vcc_lo
	v_add_co_u32 v11, s0, v4, 2
	v_add_co_ci_u32_e64 v12, s0, 0, v9, s0
	v_sub_co_u32 v13, s0, v7, s18
	v_sub_co_ci_u32_e32 v8, vcc_lo, v6, v8, vcc_lo
	v_subrev_co_ci_u32_e64 v10, s0, 0, v10, s0
	v_cmp_le_u32_e32 vcc_lo, s18, v13
	v_cmp_eq_u32_e64 s0, s19, v8
	v_cndmask_b32_e64 v13, 0, -1, vcc_lo
	v_cmp_le_u32_e32 vcc_lo, s19, v10
	v_cndmask_b32_e64 v14, 0, -1, vcc_lo
	v_cmp_le_u32_e32 vcc_lo, s18, v7
	;; [unrolled: 2-line block ×3, first 2 shown]
	v_cndmask_b32_e64 v15, 0, -1, vcc_lo
	v_cmp_eq_u32_e32 vcc_lo, s19, v10
	v_cndmask_b32_e64 v7, v15, v7, s0
	v_cndmask_b32_e32 v10, v14, v13, vcc_lo
	v_add_co_u32 v13, vcc_lo, v4, 1
	v_add_co_ci_u32_e32 v14, vcc_lo, 0, v9, vcc_lo
	v_cmp_ne_u32_e32 vcc_lo, 0, v10
	v_cndmask_b32_e32 v8, v14, v12, vcc_lo
	v_cndmask_b32_e32 v10, v13, v11, vcc_lo
	v_cmp_ne_u32_e32 vcc_lo, 0, v7
	v_cndmask_b32_e32 v8, v9, v8, vcc_lo
	v_cndmask_b32_e32 v7, v4, v10, vcc_lo
.LBB0_4:                                ;   in Loop: Header=BB0_2 Depth=1
	s_andn2_saveexec_b32 s0, s1
	s_cbranch_execz .LBB0_6
; %bb.5:                                ;   in Loop: Header=BB0_2 Depth=1
	v_cvt_f32_u32_e32 v4, s18
	s_sub_i32 s1, 0, s18
	v_rcp_iflag_f32_e32 v4, v4
	v_mul_f32_e32 v4, 0x4f7ffffe, v4
	v_cvt_u32_f32_e32 v4, v4
	v_mul_lo_u32 v7, s1, v4
	v_mul_hi_u32 v7, v4, v7
	v_add_nc_u32_e32 v4, v4, v7
	v_mul_hi_u32 v4, v5, v4
	v_mul_lo_u32 v7, v4, s18
	v_add_nc_u32_e32 v8, 1, v4
	v_sub_nc_u32_e32 v7, v5, v7
	v_subrev_nc_u32_e32 v9, s18, v7
	v_cmp_le_u32_e32 vcc_lo, s18, v7
	v_cndmask_b32_e32 v7, v7, v9, vcc_lo
	v_cndmask_b32_e32 v4, v4, v8, vcc_lo
	v_cmp_le_u32_e32 vcc_lo, s18, v7
	v_add_nc_u32_e32 v8, 1, v4
	v_cndmask_b32_e32 v7, v4, v8, vcc_lo
	v_mov_b32_e32 v8, v3
.LBB0_6:                                ;   in Loop: Header=BB0_2 Depth=1
	s_or_b32 exec_lo, exec_lo, s0
	s_load_dwordx2 s[0:1], s[6:7], 0x0
	v_mul_lo_u32 v4, v8, s18
	v_mul_lo_u32 v11, v7, s19
	v_mad_u64_u32 v[9:10], null, v7, s18, 0
	s_add_u32 s16, s16, 1
	s_addc_u32 s17, s17, 0
	s_add_u32 s6, s6, 8
	s_addc_u32 s7, s7, 0
	;; [unrolled: 2-line block ×3, first 2 shown]
	v_add3_u32 v4, v10, v11, v4
	v_sub_co_u32 v5, vcc_lo, v5, v9
	v_sub_co_ci_u32_e32 v4, vcc_lo, v6, v4, vcc_lo
	s_waitcnt lgkmcnt(0)
	v_mul_lo_u32 v6, s1, v5
	v_mul_lo_u32 v4, s0, v4
	v_mad_u64_u32 v[1:2], null, s0, v5, v[1:2]
	v_cmp_ge_u64_e64 s0, s[16:17], s[10:11]
	s_and_b32 vcc_lo, exec_lo, s0
	v_add3_u32 v2, v6, v2, v4
	s_cbranch_vccnz .LBB0_9
; %bb.7:                                ;   in Loop: Header=BB0_2 Depth=1
	v_mov_b32_e32 v5, v7
	v_mov_b32_e32 v6, v8
	s_branch .LBB0_2
.LBB0_8:
	v_mov_b32_e32 v8, v6
	v_mov_b32_e32 v7, v5
.LBB0_9:
	s_lshl_b64 s[0:1], s[10:11], 3
	v_mul_hi_u32 v3, 0x2828283, v0
	s_add_u32 s0, s12, s0
	s_addc_u32 s1, s13, s1
	s_load_dwordx2 s[0:1], s[0:1], 0x0
	s_load_dwordx2 s[4:5], s[4:5], 0x20
	v_mul_u32_u24_e32 v3, 0x66, v3
	v_sub_nc_u32_e32 v72, v0, v3
	v_add_nc_u32_e32 v76, 0x66, v72
	v_add_nc_u32_e32 v78, 0xcc, v72
	s_waitcnt lgkmcnt(0)
	v_mul_lo_u32 v4, s0, v8
	v_mul_lo_u32 v5, s1, v7
	v_mad_u64_u32 v[1:2], null, s0, v7, v[1:2]
	v_cmp_gt_u64_e32 vcc_lo, s[4:5], v[7:8]
	v_cmp_le_u64_e64 s0, s[4:5], v[7:8]
	v_add3_u32 v2, v5, v2, v4
	s_and_saveexec_b32 s1, s0
	s_xor_b32 s0, exec_lo, s1
; %bb.10:
	v_add_nc_u32_e32 v76, 0x66, v72
	v_add_nc_u32_e32 v78, 0xcc, v72
; %bb.11:
	s_or_saveexec_b32 s1, s0
	v_lshlrev_b64 v[74:75], 4, v[1:2]
	v_lshl_add_u32 v139, v72, 4, 0
	s_xor_b32 exec_lo, exec_lo, s1
	s_cbranch_execz .LBB0_13
; %bb.12:
	v_mov_b32_e32 v73, 0
	v_add_co_u32 v2, s0, s2, v74
	v_add_co_ci_u32_e64 v3, s0, s3, v75, s0
	v_lshlrev_b64 v[0:1], 4, v[72:73]
	v_add_co_u32 v16, s0, v2, v0
	v_add_co_ci_u32_e64 v17, s0, v3, v1, s0
	v_add_co_u32 v8, s0, 0x800, v16
	v_add_co_ci_u32_e64 v9, s0, 0, v17, s0
	;; [unrolled: 2-line block ×13, first 2 shown]
	s_clause 0x10
	global_load_dwordx4 v[0:3], v[16:17], off
	global_load_dwordx4 v[4:7], v[16:17], off offset:1632
	global_load_dwordx4 v[8:11], v[8:9], off offset:1216
	;; [unrolled: 1-line block ×16, first 2 shown]
	s_waitcnt vmcnt(16)
	ds_write_b128 v139, v[0:3]
	s_waitcnt vmcnt(15)
	ds_write_b128 v139, v[4:7] offset:1632
	s_waitcnt vmcnt(14)
	ds_write_b128 v139, v[8:11] offset:3264
	;; [unrolled: 2-line block ×16, first 2 shown]
.LBB0_13:
	s_or_b32 exec_lo, exec_lo, s1
	s_waitcnt lgkmcnt(0)
	s_barrier
	buffer_gl0_inv
	ds_read_b128 v[0:3], v139
	ds_read_b128 v[16:19], v139 offset:1632
	ds_read_b128 v[28:31], v139 offset:3264
	;; [unrolled: 1-line block ×16, first 2 shown]
	s_mov_b32 s22, 0x5d8e7cdc
	s_mov_b32 s23, 0xbfd71e95
	;; [unrolled: 1-line block ×6, first 2 shown]
	s_waitcnt lgkmcnt(15)
	v_add_f64 v[68:69], v[0:1], v[16:17]
	v_add_f64 v[70:71], v[2:3], v[18:19]
	s_mov_b32 s0, 0x75d4884
	s_mov_b32 s38, 0x7c9e640b
	;; [unrolled: 1-line block ×6, first 2 shown]
	s_waitcnt lgkmcnt(7)
	v_add_f64 v[83:84], v[12:13], -v[8:9]
	s_waitcnt lgkmcnt(6)
	v_add_f64 v[79:80], v[20:21], v[4:5]
	s_waitcnt lgkmcnt(5)
	v_add_f64 v[89:90], v[24:25], v[60:61]
	;; [unrolled: 2-line block ×3, first 2 shown]
	v_add_f64 v[95:96], v[34:35], v[66:67]
	v_add_f64 v[107:108], v[32:33], -v[64:65]
	v_add_f64 v[109:110], v[34:35], -v[66:67]
	v_add_f64 v[87:88], v[26:27], v[62:63]
	v_add_f64 v[99:100], v[24:25], -v[60:61]
	v_add_f64 v[101:102], v[26:27], -v[62:63]
	s_waitcnt lgkmcnt(0)
	v_add_f64 v[119:120], v[18:19], -v[50:51]
	v_add_f64 v[125:126], v[16:17], -v[48:49]
	v_add_f64 v[81:82], v[22:23], v[6:7]
	v_add_f64 v[91:92], v[20:21], -v[4:5]
	v_add_f64 v[68:69], v[68:69], v[28:29]
	v_add_f64 v[70:71], v[70:71], v[30:31]
	v_add_f64 v[93:94], v[22:23], -v[6:7]
	v_add_f64 v[111:112], v[40:41], -v[52:53]
	;; [unrolled: 1-line block ×5, first 2 shown]
	v_add_f64 v[16:17], v[16:17], v[48:49]
	v_add_f64 v[18:19], v[18:19], v[50:51]
	v_add_f64 v[85:86], v[14:15], -v[10:11]
	s_mov_b32 s20, 0xacd6c6b4
	s_mov_b32 s1, 0x3fe7a5f6
	s_mov_b32 s39, 0xbfeca52d
	s_mov_b32 s31, 0xbfefdd0d
	s_mov_b32 s15, 0xbfeec746
	s_mov_b32 s25, 0xbfe9895b
	s_mov_b32 s29, 0xbfe0d888
	s_mov_b32 s21, 0xbfc7851a
	v_mul_f64 v[127:128], v[119:120], s[22:23]
	v_mul_f64 v[137:138], v[125:126], s[22:23]
	;; [unrolled: 1-line block ×4, first 2 shown]
	v_add_f64 v[103:104], v[68:69], v[36:37]
	v_add_f64 v[105:106], v[70:71], v[38:39]
	;; [unrolled: 1-line block ×4, first 2 shown]
	v_mul_f64 v[133:134], v[119:120], s[30:31]
	v_mul_f64 v[135:136], v[119:120], s[14:15]
	;; [unrolled: 1-line block ×5, first 2 shown]
	s_mov_b32 s10, 0x2b2883cd
	s_mov_b32 s4, 0x3259b75e
	;; [unrolled: 1-line block ×10, first 2 shown]
	v_fma_f64 v[218:219], v[18:19], s[18:19], v[137:138]
	v_fma_f64 v[137:138], v[18:19], s[18:19], -v[137:138]
	s_mov_b32 s27, 0xbfeb34fa
	v_add_f64 v[121:122], v[103:104], v[40:41]
	v_add_f64 v[123:124], v[105:106], v[42:43]
	v_add_f64 v[105:106], v[40:41], v[52:53]
	v_add_f64 v[103:104], v[42:43], v[54:55]
	v_add_f64 v[42:43], v[36:37], v[56:57]
	v_add_f64 v[40:41], v[38:39], v[58:59]
	v_add_f64 v[38:39], v[28:29], v[44:45]
	v_add_f64 v[36:37], v[30:31], v[46:47]
	v_add_f64 v[30:31], v[30:31], -v[46:47]
	v_add_f64 v[28:29], v[28:29], -v[44:45]
	s_mov_b32 s17, 0xbfef7484
	v_mul_f64 v[142:143], v[125:126], s[38:39]
	v_mul_f64 v[144:145], v[125:126], s[30:31]
	;; [unrolled: 1-line block ×8, first 2 shown]
	v_add_f64 v[218:219], v[2:3], v[218:219]
	v_add_f64 v[137:138], v[2:3], v[137:138]
	v_fma_f64 v[220:221], v[16:17], s[0:1], -v[129:130]
	v_add_f64 v[32:33], v[121:122], v[32:33]
	v_add_f64 v[34:35], v[123:124], v[34:35]
	v_mul_f64 v[121:122], v[119:120], s[24:25]
	v_mul_f64 v[123:124], v[119:120], s[28:29]
	;; [unrolled: 1-line block ×3, first 2 shown]
	v_fma_f64 v[129:130], v[16:17], s[0:1], v[129:130]
	v_fma_f64 v[222:223], v[16:17], s[10:11], -v[131:132]
	v_fma_f64 v[131:132], v[16:17], s[10:11], v[131:132]
	v_mul_f64 v[152:153], v[30:31], s[34:35]
	v_mul_f64 v[154:155], v[28:29], s[34:35]
	;; [unrolled: 1-line block ×4, first 2 shown]
	v_fma_f64 v[224:225], v[16:17], s[4:5], -v[133:134]
	v_fma_f64 v[133:134], v[16:17], s[4:5], v[133:134]
	v_fma_f64 v[226:227], v[16:17], s[6:7], -v[135:136]
	v_fma_f64 v[135:136], v[16:17], s[6:7], v[135:136]
	;; [unrolled: 2-line block ×3, first 2 shown]
	v_fma_f64 v[156:157], v[42:43], s[10:11], v[156:157]
	v_fma_f64 v[158:159], v[40:41], s[10:11], -v[158:159]
	v_mul_f64 v[164:165], v[109:110], s[14:15]
	v_mul_f64 v[166:167], v[107:108], s[14:15]
	v_add_f64 v[24:25], v[32:33], v[24:25]
	v_add_f64 v[26:27], v[34:35], v[26:27]
	v_mul_f64 v[34:35], v[93:94], s[28:29]
	v_fma_f64 v[228:229], v[16:17], s[12:13], -v[121:122]
	v_mul_f64 v[174:175], v[83:84], s[20:21]
	v_mul_f64 v[180:181], v[117:118], s[24:25]
	;; [unrolled: 1-line block ×3, first 2 shown]
	v_fma_f64 v[234:235], v[18:19], s[10:11], v[142:143]
	v_fma_f64 v[230:231], v[38:39], s[0:1], -v[152:153]
	v_fma_f64 v[232:233], v[36:37], s[0:1], v[154:155]
	v_fma_f64 v[152:153], v[38:39], s[0:1], v[152:153]
	v_fma_f64 v[154:155], v[36:37], s[0:1], -v[154:155]
	v_fma_f64 v[142:143], v[18:19], s[10:11], -v[142:143]
	v_fma_f64 v[236:237], v[18:19], s[4:5], v[144:145]
	v_fma_f64 v[144:145], v[18:19], s[4:5], -v[144:145]
	v_fma_f64 v[238:239], v[18:19], s[6:7], v[146:147]
	v_fma_f64 v[250:251], v[38:39], s[4:5], -v[176:177]
	v_add_f64 v[220:221], v[0:1], v[220:221]
	v_mul_f64 v[168:169], v[101:102], s[24:25]
	v_mul_f64 v[32:33], v[99:100], s[24:25]
	;; [unrolled: 1-line block ×4, first 2 shown]
	v_add_f64 v[20:21], v[24:25], v[20:21]
	v_add_f64 v[22:23], v[26:27], v[22:23]
	v_fma_f64 v[26:27], v[16:17], s[18:19], -v[127:128]
	v_fma_f64 v[127:128], v[16:17], s[18:19], v[127:128]
	v_fma_f64 v[252:253], v[79:80], s[26:27], v[34:35]
	v_mul_f64 v[184:185], v[113:114], s[20:21]
	v_mul_f64 v[186:187], v[111:112], s[20:21]
	v_mul_f64 v[200:201], v[30:31], s[24:25]
	v_mul_f64 v[202:203], v[28:29], s[24:25]
	v_add_f64 v[218:219], v[232:233], v[218:219]
	v_fma_f64 v[232:233], v[103:104], s[4:5], v[162:163]
	v_add_f64 v[137:138], v[154:155], v[137:138]
	v_fma_f64 v[162:163], v[103:104], s[4:5], -v[162:163]
	v_fma_f64 v[244:245], v[97:98], s[6:7], -v[164:165]
	v_fma_f64 v[246:247], v[95:96], s[6:7], v[166:167]
	v_fma_f64 v[164:165], v[97:98], s[6:7], v[164:165]
	v_fma_f64 v[166:167], v[95:96], s[6:7], -v[166:167]
	v_fma_f64 v[176:177], v[38:39], s[4:5], v[176:177]
	v_add_f64 v[129:130], v[0:1], v[129:130]
	s_mov_b32 s45, 0x3fe0d888
	s_mov_b32 s53, 0x3fc7851a
	;; [unrolled: 1-line block ×3, first 2 shown]
	v_add_f64 v[12:13], v[20:21], v[12:13]
	v_add_f64 v[14:15], v[22:23], v[14:15]
	;; [unrolled: 1-line block ×4, first 2 shown]
	v_fma_f64 v[20:21], v[16:17], s[12:13], v[121:122]
	v_fma_f64 v[22:23], v[16:17], s[26:27], -v[123:124]
	v_fma_f64 v[121:122], v[16:17], s[26:27], v[123:124]
	v_fma_f64 v[123:124], v[16:17], s[16:17], -v[119:120]
	v_fma_f64 v[16:17], v[16:17], s[16:17], v[119:120]
	v_fma_f64 v[119:120], v[18:19], s[0:1], v[140:141]
	v_fma_f64 v[140:141], v[18:19], s[0:1], -v[140:141]
	v_add_f64 v[218:219], v[242:243], v[218:219]
	v_fma_f64 v[242:243], v[70:71], s[16:17], v[174:175]
	s_mov_b32 s52, s20
	v_mul_f64 v[188:189], v[109:110], s[44:45]
	v_mul_f64 v[190:191], v[107:108], s[44:45]
	;; [unrolled: 1-line block ×4, first 2 shown]
	v_fma_f64 v[248:249], v[89:90], s[12:13], -v[168:169]
	v_fma_f64 v[154:155], v[68:69], s[16:17], -v[172:173]
	v_fma_f64 v[168:169], v[89:90], s[12:13], v[168:169]
	v_add_f64 v[222:223], v[0:1], v[222:223]
	v_add_f64 v[8:9], v[12:13], v[8:9]
	;; [unrolled: 1-line block ×5, first 2 shown]
	v_fma_f64 v[12:13], v[18:19], s[6:7], -v[146:147]
	v_fma_f64 v[14:15], v[18:19], s[12:13], v[148:149]
	v_fma_f64 v[146:147], v[18:19], s[12:13], -v[148:149]
	v_fma_f64 v[148:149], v[18:19], s[26:27], v[150:151]
	;; [unrolled: 2-line block ×3, first 2 shown]
	v_fma_f64 v[18:19], v[18:19], s[16:17], -v[125:126]
	v_fma_f64 v[125:126], v[105:106], s[4:5], -v[160:161]
	v_add_f64 v[119:120], v[2:3], v[119:120]
	v_fma_f64 v[160:161], v[105:106], s[4:5], v[160:161]
	v_add_f64 v[218:219], v[232:233], v[218:219]
	v_add_f64 v[140:141], v[2:3], v[140:141]
	v_fma_f64 v[152:153], v[81:82], s[26:27], v[170:171]
	v_add_f64 v[234:235], v[2:3], v[234:235]
	s_mov_b32 s43, 0x3feec746
	s_mov_b32 s42, s14
	v_add_f64 v[131:132], v[0:1], v[131:132]
	v_mul_f64 v[192:193], v[101:102], s[42:43]
	v_add_f64 v[4:5], v[8:9], v[4:5]
	v_add_f64 v[6:7], v[10:11], v[6:7]
	v_fma_f64 v[10:11], v[79:80], s[26:27], -v[34:35]
	v_add_f64 v[26:27], v[240:241], v[26:27]
	v_fma_f64 v[240:241], v[36:37], s[4:5], v[178:179]
	v_add_f64 v[34:35], v[156:157], v[127:128]
	v_add_f64 v[127:128], v[158:159], v[137:138]
	v_fma_f64 v[137:138], v[70:71], s[16:17], -v[174:175]
	v_fma_f64 v[156:157], v[42:43], s[12:13], -v[180:181]
	v_fma_f64 v[158:159], v[40:41], s[12:13], v[182:183]
	v_add_f64 v[174:175], v[250:251], v[220:221]
	v_fma_f64 v[178:179], v[36:37], s[4:5], -v[178:179]
	v_fma_f64 v[8:9], v[87:88], s[12:13], v[32:33]
	v_fma_f64 v[32:33], v[87:88], s[12:13], -v[32:33]
	v_fma_f64 v[180:181], v[42:43], s[12:13], v[180:181]
	v_mul_f64 v[194:195], v[99:100], s[42:43]
	v_mul_f64 v[206:207], v[113:114], s[42:43]
	;; [unrolled: 1-line block ×3, first 2 shown]
	v_fma_f64 v[220:221], v[97:98], s[26:27], -v[188:189]
	v_add_f64 v[142:143], v[2:3], v[142:143]
	s_mov_b32 s37, 0x3feca52d
	s_mov_b32 s41, 0x3fe58eea
	v_add_f64 v[4:5], v[4:5], v[60:61]
	v_add_f64 v[6:7], v[6:7], v[62:63]
	v_fma_f64 v[60:61], v[81:82], s[26:27], -v[170:171]
	v_add_f64 v[26:27], v[125:126], v[26:27]
	v_add_f64 v[119:120], v[240:241], v[119:120]
	;; [unrolled: 1-line block ×4, first 2 shown]
	v_fma_f64 v[62:63], v[68:69], s[16:17], v[172:173]
	v_fma_f64 v[170:171], v[105:106], s[16:17], -v[184:185]
	v_fma_f64 v[172:173], v[103:104], s[16:17], v[186:187]
	v_fma_f64 v[160:161], v[103:104], s[16:17], -v[186:187]
	v_fma_f64 v[186:187], v[36:37], s[12:13], v[202:203]
	v_add_f64 v[156:157], v[156:157], v[174:175]
	v_fma_f64 v[240:241], v[95:96], s[26:27], v[190:191]
	v_fma_f64 v[162:163], v[97:98], s[26:27], v[188:189]
	v_fma_f64 v[188:189], v[42:43], s[16:17], -v[204:205]
	s_mov_b32 s36, s38
	s_mov_b32 s40, s34
	v_mul_f64 v[196:197], v[93:94], s[36:37]
	v_mul_f64 v[198:199], v[91:92], s[36:37]
	;; [unrolled: 1-line block ×4, first 2 shown]
	v_add_f64 v[4:5], v[4:5], v[64:65]
	v_add_f64 v[6:7], v[6:7], v[66:67]
	v_fma_f64 v[64:65], v[40:41], s[12:13], -v[182:183]
	v_fma_f64 v[66:67], v[105:106], s[16:17], v[184:185]
	v_fma_f64 v[184:185], v[38:39], s[12:13], -v[200:201]
	v_add_f64 v[119:120], v[158:159], v[119:120]
	v_add_f64 v[26:27], v[244:245], v[26:27]
	;; [unrolled: 1-line block ×5, first 2 shown]
	v_fma_f64 v[182:183], v[95:96], s[26:27], -v[190:191]
	v_fma_f64 v[190:191], v[40:41], s[16:17], v[24:25]
	v_fma_f64 v[200:201], v[38:39], s[12:13], v[200:201]
	v_add_f64 v[156:157], v[170:171], v[156:157]
	v_mul_f64 v[214:215], v[30:31], s[20:21]
	v_mul_f64 v[216:217], v[28:29], s[20:21]
	v_fma_f64 v[125:126], v[89:90], s[6:7], -v[192:193]
	v_fma_f64 v[232:233], v[87:88], s[6:7], v[194:195]
	v_fma_f64 v[174:175], v[105:106], s[6:7], -v[206:207]
	v_fma_f64 v[164:165], v[103:104], s[6:7], v[208:209]
	v_add_f64 v[170:171], v[2:3], v[12:13]
	v_fma_f64 v[166:167], v[97:98], s[0:1], -v[210:211]
	v_add_f64 v[4:5], v[4:5], v[52:53]
	v_add_f64 v[6:7], v[6:7], v[54:55]
	;; [unrolled: 1-line block ×4, first 2 shown]
	v_fma_f64 v[129:130], v[36:37], s[12:13], -v[202:203]
	v_fma_f64 v[176:177], v[40:41], s[16:17], -v[24:25]
	v_add_f64 v[24:25], v[184:185], v[222:223]
	v_add_f64 v[184:185], v[186:187], v[234:235]
	;; [unrolled: 1-line block ×7, first 2 shown]
	v_fma_f64 v[140:141], v[42:43], s[16:17], v[204:205]
	v_add_f64 v[32:33], v[0:1], v[20:21]
	v_add_f64 v[34:35], v[2:3], v[146:147]
	;; [unrolled: 1-line block ×29, first 2 shown]
	v_fma_f64 v[125:126], v[81:82], s[10:11], v[198:199]
	v_add_f64 v[127:128], v[4:5], v[44:45]
	v_add_f64 v[152:153], v[6:7], v[46:47]
	;; [unrolled: 1-line block ×16, first 2 shown]
	v_mul_f64 v[60:61], v[99:100], s[22:23]
	v_fma_f64 v[119:120], v[87:88], s[6:7], -v[194:195]
	v_fma_f64 v[123:124], v[79:80], s[10:11], -v[196:197]
	v_add_f64 v[16:17], v[140:141], v[16:17]
	v_fma_f64 v[129:130], v[103:104], s[6:7], -v[208:209]
	v_fma_f64 v[131:132], v[38:39], s[16:17], -v[214:215]
	v_add_f64 v[8:9], v[127:128], v[48:49]
	v_add_f64 v[10:11], v[152:153], v[50:51]
	v_fma_f64 v[48:49], v[95:96], s[0:1], v[212:213]
	v_mul_f64 v[50:51], v[101:102], s[22:23]
	v_add_f64 v[22:23], v[162:163], v[22:23]
	v_add_f64 v[62:63], v[182:183], v[66:67]
	v_fma_f64 v[66:67], v[89:90], s[6:7], v[192:193]
	v_add_f64 v[121:122], v[176:177], v[121:122]
	v_fma_f64 v[127:128], v[105:106], s[6:7], v[206:207]
	v_fma_f64 v[137:138], v[36:37], s[16:17], v[216:217]
	v_mul_f64 v[140:141], v[117:118], s[42:43]
	v_mul_f64 v[142:143], v[115:116], s[42:43]
	s_mov_b32 s47, 0x3fd71e95
	s_mov_b32 s46, s22
	v_add_f64 v[12:13], v[166:167], v[12:13]
	v_mul_f64 v[146:147], v[85:86], s[46:47]
	v_mul_f64 v[148:149], v[83:84], s[46:47]
	v_fma_f64 v[150:151], v[87:88], s[18:19], v[60:61]
	v_mul_f64 v[152:153], v[93:94], s[30:31]
	v_mul_f64 v[154:155], v[91:92], s[30:31]
	v_add_f64 v[18:19], v[123:124], v[18:19]
	v_add_f64 v[20:21], v[125:126], v[20:21]
	v_fma_f64 v[123:124], v[97:98], s[0:1], v[210:211]
	v_fma_f64 v[125:126], v[95:96], s[0:1], -v[212:213]
	v_add_f64 v[14:15], v[48:49], v[14:15]
	v_fma_f64 v[48:49], v[89:90], s[18:19], -v[50:51]
	v_mul_f64 v[156:157], v[113:114], s[46:47]
	v_add_f64 v[62:63], v[119:120], v[62:63]
	v_add_f64 v[22:23], v[66:67], v[22:23]
	v_fma_f64 v[66:67], v[79:80], s[10:11], v[196:197]
	v_fma_f64 v[119:120], v[81:82], s[10:11], -v[198:199]
	v_add_f64 v[16:17], v[127:128], v[16:17]
	v_add_f64 v[121:122], v[129:130], v[121:122]
	;; [unrolled: 1-line block ×4, first 2 shown]
	v_fma_f64 v[131:132], v[42:43], s[6:7], -v[140:141]
	v_fma_f64 v[137:138], v[40:41], s[6:7], v[142:143]
	v_mul_f64 v[158:159], v[111:112], s[46:47]
	v_fma_f64 v[160:161], v[68:69], s[18:19], -v[146:147]
	v_fma_f64 v[162:163], v[70:71], s[18:19], v[148:149]
	v_mul_f64 v[164:165], v[85:86], s[28:29]
	v_fma_f64 v[50:51], v[89:90], s[18:19], v[50:51]
	v_fma_f64 v[60:61], v[87:88], s[18:19], -v[60:61]
	v_fma_f64 v[176:177], v[38:39], s[16:17], v[214:215]
	v_mul_f64 v[166:167], v[83:84], s[28:29]
	v_mul_f64 v[174:175], v[107:108], s[38:39]
	v_add_f64 v[14:15], v[150:151], v[14:15]
	v_add_f64 v[12:13], v[48:49], v[12:13]
	v_fma_f64 v[48:49], v[79:80], s[4:5], -v[152:153]
	v_fma_f64 v[150:151], v[81:82], s[4:5], v[154:155]
	v_fma_f64 v[178:179], v[36:37], s[16:17], -v[216:217]
	v_add_f64 v[22:23], v[66:67], v[22:23]
	v_add_f64 v[62:63], v[119:120], v[62:63]
	v_fma_f64 v[66:67], v[68:69], s[18:19], v[146:147]
	v_fma_f64 v[119:120], v[70:71], s[18:19], -v[148:149]
	v_mul_f64 v[146:147], v[30:31], s[44:45]
	v_mul_f64 v[148:149], v[28:29], s[44:45]
	v_add_f64 v[123:124], v[123:124], v[16:17]
	v_add_f64 v[121:122], v[125:126], v[121:122]
	;; [unrolled: 1-line block ×4, first 2 shown]
	v_fma_f64 v[129:130], v[105:106], s[18:19], -v[156:157]
	v_mul_f64 v[137:138], v[109:110], s[38:39]
	v_fma_f64 v[131:132], v[103:104], s[18:19], v[158:159]
	v_fma_f64 v[182:183], v[68:69], s[26:27], -v[164:165]
	v_add_f64 v[133:134], v[176:177], v[133:134]
	v_fma_f64 v[140:141], v[42:43], s[6:7], v[140:141]
	v_fma_f64 v[184:185], v[70:71], s[26:27], v[166:167]
	v_add_f64 v[16:17], v[160:161], v[18:19]
	v_add_f64 v[18:19], v[162:163], v[20:21]
	;; [unrolled: 1-line block ×4, first 2 shown]
	v_mul_f64 v[160:161], v[115:116], s[40:41]
	v_add_f64 v[144:145], v[178:179], v[144:145]
	v_fma_f64 v[142:143], v[40:41], s[6:7], -v[142:143]
	v_add_f64 v[12:13], v[66:67], v[22:23]
	v_add_f64 v[14:15], v[119:120], v[62:63]
	v_fma_f64 v[62:63], v[38:39], s[26:27], -v[146:147]
	v_fma_f64 v[66:67], v[36:37], s[26:27], v[148:149]
	v_mul_f64 v[119:120], v[117:118], s[40:41]
	v_add_f64 v[50:51], v[50:51], v[123:124]
	v_add_f64 v[60:61], v[60:61], v[121:122]
	v_fma_f64 v[121:122], v[79:80], s[4:5], v[152:153]
	v_fma_f64 v[123:124], v[81:82], s[4:5], -v[154:155]
	v_add_f64 v[125:126], v[129:130], v[125:126]
	v_fma_f64 v[129:130], v[97:98], s[10:11], -v[137:138]
	v_add_f64 v[127:128], v[131:132], v[127:128]
	v_fma_f64 v[131:132], v[95:96], s[10:11], v[174:175]
	v_mul_f64 v[154:155], v[30:31], s[42:43]
	v_mul_f64 v[162:163], v[28:29], s[42:43]
	;; [unrolled: 1-line block ×4, first 2 shown]
	v_add_f64 v[20:21], v[182:183], v[48:49]
	v_add_f64 v[22:23], v[184:185], v[150:151]
	v_mul_f64 v[150:151], v[101:102], s[28:29]
	v_fma_f64 v[176:177], v[40:41], s[0:1], v[160:161]
	v_mul_f64 v[182:183], v[111:112], s[38:39]
	s_mov_b32 s51, 0x3fe9895b
	s_mov_b32 s50, s24
	v_add_f64 v[168:169], v[62:63], v[168:169]
	v_add_f64 v[64:65], v[66:67], v[64:65]
	v_fma_f64 v[66:67], v[42:43], s[0:1], -v[119:120]
	v_fma_f64 v[119:120], v[42:43], s[0:1], v[119:120]
	v_fma_f64 v[62:63], v[70:71], s[26:27], -v[166:167]
	v_add_f64 v[48:49], v[121:122], v[50:51]
	v_add_f64 v[50:51], v[123:124], v[60:61]
	v_fma_f64 v[121:122], v[38:39], s[26:27], v[146:147]
	v_fma_f64 v[123:124], v[36:37], s[26:27], -v[148:149]
	v_add_f64 v[125:126], v[129:130], v[125:126]
	v_add_f64 v[129:130], v[140:141], v[133:134]
	v_fma_f64 v[133:134], v[105:106], s[18:19], v[156:157]
	v_add_f64 v[127:128], v[131:132], v[127:128]
	v_add_f64 v[131:132], v[142:143], v[144:145]
	v_fma_f64 v[140:141], v[103:104], s[18:19], -v[158:159]
	v_fma_f64 v[146:147], v[38:39], s[6:7], -v[154:155]
	v_fma_f64 v[148:149], v[36:37], s[6:7], v[162:163]
	v_mul_f64 v[158:159], v[115:116], s[22:23]
	v_mul_f64 v[156:157], v[117:118], s[22:23]
	v_fma_f64 v[60:61], v[68:69], s[26:27], v[164:165]
	v_fma_f64 v[164:165], v[105:106], s[10:11], -v[178:179]
	v_fma_f64 v[142:143], v[89:90], s[26:27], -v[150:151]
	v_fma_f64 v[166:167], v[103:104], s[10:11], v[182:183]
	v_add_f64 v[64:65], v[176:177], v[64:65]
	v_add_f64 v[66:67], v[66:67], v[168:169]
	v_mul_f64 v[168:169], v[109:110], s[20:21]
	v_mul_f64 v[176:177], v[107:108], s[20:21]
	v_fma_f64 v[144:145], v[87:88], s[26:27], v[152:153]
	s_mov_b32 s49, 0x3fefdd0d
	v_add_f64 v[121:122], v[121:122], v[135:136]
	v_add_f64 v[123:124], v[123:124], v[170:171]
	v_fma_f64 v[135:136], v[40:41], s[0:1], -v[160:161]
	s_mov_b32 s48, s30
	v_add_f64 v[129:130], v[133:134], v[129:130]
	v_fma_f64 v[133:134], v[97:98], s[10:11], v[137:138]
	v_fma_f64 v[137:138], v[95:96], s[10:11], -v[174:175]
	v_add_f64 v[131:132], v[140:141], v[131:132]
	v_add_f64 v[140:141], v[146:147], v[172:173]
	;; [unrolled: 1-line block ×3, first 2 shown]
	v_fma_f64 v[172:173], v[40:41], s[18:19], v[158:159]
	v_mul_f64 v[180:181], v[111:112], s[28:29]
	v_fma_f64 v[148:149], v[42:43], s[18:19], -v[156:157]
	v_mul_f64 v[174:175], v[113:114], s[28:29]
	v_mul_f64 v[160:161], v[93:94], s[50:51]
	;; [unrolled: 1-line block ×4, first 2 shown]
	v_add_f64 v[66:67], v[164:165], v[66:67]
	v_fma_f64 v[164:165], v[97:98], s[16:17], -v[168:169]
	v_add_f64 v[64:65], v[166:167], v[64:65]
	v_fma_f64 v[166:167], v[95:96], s[16:17], v[176:177]
	v_mul_f64 v[186:187], v[99:100], s[48:49]
	v_add_f64 v[119:120], v[119:120], v[121:122]
	v_add_f64 v[125:126], v[142:143], v[125:126]
	;; [unrolled: 1-line block ×3, first 2 shown]
	v_fma_f64 v[123:124], v[105:106], s[10:11], v[178:179]
	v_fma_f64 v[135:136], v[103:104], s[10:11], -v[182:183]
	v_add_f64 v[129:130], v[133:134], v[129:130]
	v_fma_f64 v[133:134], v[89:90], s[26:27], v[150:151]
	v_add_f64 v[131:132], v[137:138], v[131:132]
	v_fma_f64 v[137:138], v[87:88], s[26:27], -v[152:153]
	v_mul_f64 v[150:151], v[107:108], s[48:49]
	v_add_f64 v[142:143], v[172:173], v[146:147]
	v_fma_f64 v[146:147], v[103:104], s[26:27], v[180:181]
	v_add_f64 v[127:128], v[144:145], v[127:128]
	v_add_f64 v[140:141], v[148:149], v[140:141]
	v_fma_f64 v[144:145], v[105:106], s[26:27], -v[174:175]
	v_mul_f64 v[148:149], v[109:110], s[48:49]
	v_fma_f64 v[152:153], v[79:80], s[12:13], -v[160:161]
	v_fma_f64 v[178:179], v[89:90], s[4:5], -v[184:185]
	v_add_f64 v[164:165], v[164:165], v[66:67]
	v_fma_f64 v[168:169], v[97:98], s[16:17], v[168:169]
	v_fma_f64 v[160:161], v[79:80], s[12:13], v[160:161]
	v_fma_f64 v[172:173], v[81:82], s[12:13], v[170:171]
	v_add_f64 v[166:167], v[166:167], v[64:65]
	v_fma_f64 v[182:183], v[87:88], s[4:5], v[186:187]
	v_fma_f64 v[176:177], v[95:96], s[16:17], -v[176:177]
	v_add_f64 v[123:124], v[123:124], v[119:120]
	v_add_f64 v[192:193], v[135:136], v[121:122]
	v_fma_f64 v[170:171], v[81:82], s[12:13], -v[170:171]
	v_add_f64 v[133:134], v[133:134], v[129:130]
	v_mul_f64 v[135:136], v[101:102], s[34:35]
	v_add_f64 v[131:132], v[137:138], v[131:132]
	v_mul_f64 v[137:138], v[99:100], s[34:35]
	v_mul_f64 v[188:189], v[93:94], s[22:23]
	v_add_f64 v[142:143], v[146:147], v[142:143]
	v_fma_f64 v[146:147], v[95:96], s[4:5], v[150:151]
	v_mul_f64 v[196:197], v[83:84], s[40:41]
	v_add_f64 v[140:141], v[144:145], v[140:141]
	v_fma_f64 v[144:145], v[97:98], s[4:5], -v[148:149]
	v_add_f64 v[64:65], v[152:153], v[125:126]
	v_mul_f64 v[190:191], v[91:92], s[22:23]
	v_add_f64 v[152:153], v[178:179], v[164:165]
	v_fma_f64 v[178:179], v[89:90], s[4:5], v[184:185]
	v_mul_f64 v[194:195], v[85:86], s[40:41]
	v_fma_f64 v[154:155], v[38:39], s[6:7], v[154:155]
	v_add_f64 v[66:67], v[172:173], v[127:128]
	v_add_f64 v[164:165], v[182:183], v[166:167]
	v_fma_f64 v[182:183], v[87:88], s[4:5], -v[186:187]
	v_add_f64 v[168:169], v[168:169], v[123:124]
	v_add_f64 v[176:177], v[176:177], v[192:193]
	v_mul_f64 v[192:193], v[117:118], s[30:31]
	v_add_f64 v[123:124], v[160:161], v[133:134]
	v_mul_f64 v[160:161], v[30:31], s[36:37]
	v_mul_f64 v[30:31], v[30:31], s[46:47]
	v_add_f64 v[125:126], v[170:171], v[131:132]
	v_mul_f64 v[170:171], v[28:29], s[36:37]
	v_mul_f64 v[28:29], v[28:29], s[46:47]
	v_add_f64 v[142:143], v[146:147], v[142:143]
	v_fma_f64 v[146:147], v[87:88], s[0:1], v[137:138]
	v_fma_f64 v[166:167], v[79:80], s[18:19], -v[188:189]
	v_add_f64 v[140:141], v[144:145], v[140:141]
	v_fma_f64 v[144:145], v[89:90], s[0:1], -v[135:136]
	v_fma_f64 v[129:130], v[70:71], s[0:1], v[196:197]
	v_fma_f64 v[133:134], v[70:71], s[0:1], -v[196:197]
	v_mul_f64 v[117:118], v[117:118], s[28:29]
	v_fma_f64 v[172:173], v[81:82], s[18:19], v[190:191]
	v_fma_f64 v[127:128], v[68:69], s[0:1], -v[194:195]
	v_fma_f64 v[131:132], v[68:69], s[0:1], v[194:195]
	v_fma_f64 v[162:163], v[36:37], s[6:7], -v[162:163]
	v_mul_f64 v[194:195], v[115:116], s[30:31]
	v_add_f64 v[168:169], v[178:179], v[168:169]
	v_fma_f64 v[178:179], v[79:80], s[18:19], v[188:189]
	v_add_f64 v[176:177], v[182:183], v[176:177]
	v_fma_f64 v[182:183], v[81:82], s[18:19], -v[190:191]
	v_fma_f64 v[188:189], v[38:39], s[10:11], -v[160:161]
	;; [unrolled: 1-line block ×3, first 2 shown]
	v_mul_f64 v[115:116], v[115:116], s[28:29]
	v_fma_f64 v[190:191], v[36:37], s[10:11], v[170:171]
	v_fma_f64 v[198:199], v[36:37], s[18:19], v[28:29]
	;; [unrolled: 1-line block ×3, first 2 shown]
	v_add_f64 v[142:143], v[146:147], v[142:143]
	v_fma_f64 v[146:147], v[36:37], s[10:11], -v[170:171]
	v_fma_f64 v[28:29], v[36:37], s[18:19], -v[28:29]
	v_add_f64 v[140:141], v[144:145], v[140:141]
	v_fma_f64 v[144:145], v[38:39], s[10:11], v[160:161]
	v_add_f64 v[32:33], v[154:155], v[32:33]
	v_fma_f64 v[38:39], v[40:41], s[18:19], -v[158:159]
	v_fma_f64 v[154:155], v[42:43], s[4:5], -v[192:193]
	v_mul_f64 v[158:159], v[113:114], s[50:51]
	v_mul_f64 v[113:114], v[113:114], s[40:41]
	v_add_f64 v[34:35], v[162:163], v[34:35]
	v_fma_f64 v[36:37], v[42:43], s[18:19], v[156:157]
	v_fma_f64 v[156:157], v[40:41], s[4:5], v[194:195]
	v_mul_f64 v[162:163], v[111:112], s[50:51]
	v_mul_f64 v[111:112], v[111:112], s[40:41]
	;; [unrolled: 1-line block ×3, first 2 shown]
	v_add_f64 v[56:57], v[188:189], v[56:57]
	v_add_f64 v[46:47], v[196:197], v[46:47]
	v_fma_f64 v[188:189], v[42:43], s[26:27], -v[117:118]
	v_add_f64 v[58:59], v[190:191], v[58:59]
	v_add_f64 v[52:53], v[198:199], v[52:53]
	v_fma_f64 v[190:191], v[40:41], s[26:27], v[115:116]
	v_add_f64 v[24:25], v[30:31], v[24:25]
	v_add_f64 v[54:55], v[146:147], v[54:55]
	v_fma_f64 v[146:147], v[40:41], s[4:5], -v[194:195]
	v_add_f64 v[26:27], v[28:29], v[26:27]
	v_fma_f64 v[28:29], v[42:43], s[26:27], v[117:118]
	v_fma_f64 v[30:31], v[40:41], s[26:27], -v[115:116]
	v_add_f64 v[44:45], v[144:145], v[44:45]
	v_fma_f64 v[144:145], v[42:43], s[4:5], v[192:193]
	v_mul_f64 v[115:116], v[109:110], s[22:23]
	v_mul_f64 v[109:110], v[109:110], s[24:25]
	;; [unrolled: 1-line block ×4, first 2 shown]
	v_add_f64 v[32:33], v[36:37], v[32:33]
	v_add_f64 v[34:35], v[38:39], v[34:35]
	v_fma_f64 v[36:37], v[105:106], s[26:27], v[174:175]
	v_fma_f64 v[38:39], v[103:104], s[26:27], -v[180:181]
	v_add_f64 v[40:41], v[154:155], v[56:57]
	v_fma_f64 v[56:57], v[105:106], s[12:13], -v[158:159]
	v_add_f64 v[46:47], v[188:189], v[46:47]
	;; [unrolled: 2-line block ×3, first 2 shown]
	v_fma_f64 v[58:59], v[103:104], s[12:13], v[162:163]
	v_add_f64 v[52:53], v[190:191], v[52:53]
	v_fma_f64 v[156:157], v[103:104], s[0:1], v[111:112]
	v_add_f64 v[54:55], v[146:147], v[54:55]
	v_fma_f64 v[146:147], v[103:104], s[12:13], -v[162:163]
	v_add_f64 v[24:25], v[28:29], v[24:25]
	v_add_f64 v[26:27], v[30:31], v[26:27]
	v_fma_f64 v[28:29], v[105:106], s[0:1], v[113:114]
	v_fma_f64 v[30:31], v[103:104], s[0:1], -v[111:112]
	v_add_f64 v[44:45], v[144:145], v[44:45]
	v_fma_f64 v[144:145], v[105:106], s[12:13], v[158:159]
	v_mul_f64 v[103:104], v[101:102], s[20:21]
	v_fma_f64 v[111:112], v[97:98], s[18:19], v[115:116]
	v_mul_f64 v[101:102], v[101:102], s[36:37]
	v_mul_f64 v[105:106], v[99:100], s[20:21]
	v_fma_f64 v[113:114], v[95:96], s[18:19], -v[117:118]
	v_mul_f64 v[99:100], v[99:100], s[36:37]
	v_add_f64 v[32:33], v[36:37], v[32:33]
	v_add_f64 v[40:41], v[56:57], v[40:41]
	v_fma_f64 v[56:57], v[97:98], s[18:19], -v[115:116]
	v_add_f64 v[46:47], v[154:155], v[46:47]
	v_fma_f64 v[115:116], v[97:98], s[12:13], -v[109:110]
	v_add_f64 v[42:43], v[58:59], v[42:43]
	v_fma_f64 v[58:59], v[95:96], s[18:19], v[117:118]
	v_add_f64 v[52:53], v[156:157], v[52:53]
	v_fma_f64 v[117:118], v[95:96], s[12:13], v[107:108]
	v_add_f64 v[54:55], v[146:147], v[54:55]
	v_add_f64 v[34:35], v[38:39], v[34:35]
	v_fma_f64 v[36:37], v[97:98], s[4:5], v[148:149]
	v_add_f64 v[24:25], v[28:29], v[24:25]
	v_add_f64 v[26:27], v[30:31], v[26:27]
	v_fma_f64 v[28:29], v[97:98], s[12:13], v[109:110]
	v_fma_f64 v[30:31], v[95:96], s[12:13], -v[107:108]
	v_add_f64 v[44:45], v[144:145], v[44:45]
	v_fma_f64 v[38:39], v[95:96], s[4:5], -v[150:151]
	v_mul_f64 v[95:96], v[93:94], s[40:41]
	v_fma_f64 v[107:108], v[89:90], s[10:11], -v[101:102]
	v_mul_f64 v[93:94], v[93:94], s[14:15]
	v_mul_f64 v[186:187], v[91:92], s[20:21]
	;; [unrolled: 1-line block ×3, first 2 shown]
	v_fma_f64 v[109:110], v[87:88], s[10:11], v[99:100]
	v_add_f64 v[40:41], v[56:57], v[40:41]
	v_fma_f64 v[56:57], v[89:90], s[16:17], -v[103:104]
	v_add_f64 v[46:47], v[115:116], v[46:47]
	v_mul_f64 v[91:92], v[91:92], s[14:15]
	v_add_f64 v[42:43], v[58:59], v[42:43]
	v_fma_f64 v[58:59], v[87:88], s[16:17], v[105:106]
	v_fma_f64 v[105:106], v[87:88], s[16:17], -v[105:106]
	v_add_f64 v[54:55], v[113:114], v[54:55]
	v_add_f64 v[52:53], v[117:118], v[52:53]
	v_fma_f64 v[103:104], v[89:90], s[16:17], v[103:104]
	v_add_f64 v[32:33], v[36:37], v[32:33]
	v_fma_f64 v[36:37], v[89:90], s[0:1], v[135:136]
	v_add_f64 v[24:25], v[28:29], v[24:25]
	v_add_f64 v[26:27], v[30:31], v[26:27]
	v_fma_f64 v[28:29], v[89:90], s[10:11], v[101:102]
	v_fma_f64 v[30:31], v[87:88], s[10:11], -v[99:100]
	v_add_f64 v[44:45], v[111:112], v[44:45]
	v_add_f64 v[34:35], v[38:39], v[34:35]
	v_fma_f64 v[38:39], v[87:88], s[0:1], -v[137:138]
	v_mul_f64 v[119:120], v[85:86], s[24:25]
	v_mul_f64 v[200:201], v[85:86], s[36:37]
	;; [unrolled: 1-line block ×3, first 2 shown]
	v_fma_f64 v[99:100], v[79:80], s[6:7], -v[93:94]
	v_mul_f64 v[85:86], v[85:86], s[48:49]
	v_add_f64 v[46:47], v[107:108], v[46:47]
	v_mul_f64 v[121:122], v[83:84], s[24:25]
	v_mul_f64 v[202:203], v[83:84], s[36:37]
	v_add_f64 v[40:41], v[56:57], v[40:41]
	v_add_f64 v[42:43], v[58:59], v[42:43]
	v_fma_f64 v[56:57], v[79:80], s[0:1], -v[95:96]
	v_fma_f64 v[58:59], v[81:82], s[0:1], v[97:98]
	v_mul_f64 v[89:90], v[83:84], s[14:15]
	v_add_f64 v[54:55], v[105:106], v[54:55]
	v_fma_f64 v[97:98], v[81:82], s[0:1], -v[97:98]
	v_add_f64 v[52:53], v[109:110], v[52:53]
	v_fma_f64 v[101:102], v[81:82], s[6:7], v[91:92]
	v_mul_f64 v[83:84], v[83:84], s[48:49]
	v_add_f64 v[24:25], v[28:29], v[24:25]
	v_add_f64 v[26:27], v[30:31], v[26:27]
	v_fma_f64 v[28:29], v[79:80], s[6:7], v[93:94]
	v_fma_f64 v[30:31], v[81:82], s[6:7], -v[91:92]
	v_fma_f64 v[160:161], v[79:80], s[16:17], -v[184:185]
	v_fma_f64 v[170:171], v[81:82], s[16:17], v[186:187]
	v_add_f64 v[44:45], v[103:104], v[44:45]
	v_fma_f64 v[95:96], v[79:80], s[0:1], v[95:96]
	v_add_f64 v[32:33], v[36:37], v[32:33]
	v_add_f64 v[34:35], v[38:39], v[34:35]
	v_fma_f64 v[36:37], v[79:80], s[16:17], v[184:185]
	v_fma_f64 v[38:39], v[81:82], s[16:17], -v[186:187]
	v_add_f64 v[152:153], v[166:167], v[152:153]
	v_fma_f64 v[166:167], v[68:69], s[12:13], -v[119:120]
	v_add_f64 v[79:80], v[178:179], v[168:169]
	v_fma_f64 v[103:104], v[68:69], s[10:11], -v[200:201]
	v_fma_f64 v[111:112], v[68:69], s[10:11], v[200:201]
	v_fma_f64 v[113:114], v[68:69], s[6:7], -v[87:88]
	v_fma_f64 v[87:88], v[68:69], s[6:7], v[87:88]
	v_add_f64 v[46:47], v[99:100], v[46:47]
	v_fma_f64 v[99:100], v[68:69], s[4:5], -v[85:86]
	v_fma_f64 v[85:86], v[68:69], s[4:5], v[85:86]
	v_fma_f64 v[68:69], v[68:69], s[12:13], v[119:120]
	v_add_f64 v[164:165], v[172:173], v[164:165]
	v_fma_f64 v[172:173], v[70:71], s[12:13], v[121:122]
	v_add_f64 v[81:82], v[182:183], v[176:177]
	;; [unrolled: 2-line block ×3, first 2 shown]
	v_add_f64 v[58:59], v[58:59], v[42:43]
	v_fma_f64 v[115:116], v[70:71], s[6:7], v[89:90]
	v_add_f64 v[54:55], v[97:98], v[54:55]
	v_add_f64 v[97:98], v[101:102], v[52:53]
	v_fma_f64 v[101:102], v[70:71], s[4:5], v[83:84]
	v_fma_f64 v[83:84], v[70:71], s[4:5], -v[83:84]
	v_fma_f64 v[89:90], v[70:71], s[6:7], -v[89:90]
	;; [unrolled: 1-line block ×4, first 2 shown]
	v_add_f64 v[117:118], v[28:29], v[24:25]
	v_add_f64 v[135:136], v[30:31], v[26:27]
	;; [unrolled: 1-line block ×9, first 2 shown]
	v_and_b32_e32 v68, 0xff, v72
	v_add_f64 v[24:25], v[60:61], v[48:49]
	v_add_f64 v[26:27], v[62:63], v[50:51]
	;; [unrolled: 1-line block ×18, first 2 shown]
	v_mul_lo_u16 v68, 0xf1, v68
	v_add_f64 v[44:45], v[111:112], v[107:108]
	v_add_f64 v[46:47], v[137:138], v[109:110]
	v_lshl_add_u32 v69, v72, 8, v139
	v_lshrrev_b16 v73, 12, v68
	s_barrier
	buffer_gl0_inv
	ds_write_b128 v69, v[8:11]
	ds_write_b128 v69, v[4:7] offset:16
	ds_write_b128 v69, v[16:19] offset:32
	;; [unrolled: 1-line block ×7, first 2 shown]
	v_mul_lo_u16 v4, v73, 17
	ds_write_b128 v69, v[56:59] offset:128
	ds_write_b128 v69, v[60:63] offset:144
	;; [unrolled: 1-line block ×8, first 2 shown]
	v_sub_nc_u16 v77, v72, v4
	v_mov_b32_e32 v4, 8
	ds_write_b128 v69, v[0:3] offset:256
	s_waitcnt lgkmcnt(0)
	s_barrier
	buffer_gl0_inv
	v_lshlrev_b32_sdwa v32, v4, v77 dst_sel:DWORD dst_unused:UNUSED_PAD src0_sel:DWORD src1_sel:BYTE_0
	s_clause 0xf
	global_load_dwordx4 v[28:31], v32, s[8:9]
	global_load_dwordx4 v[24:27], v32, s[8:9] offset:16
	global_load_dwordx4 v[8:11], v32, s[8:9] offset:32
	;; [unrolled: 1-line block ×15, first 2 shown]
	v_lshl_add_u32 v136, v76, 4, 0
	v_lshl_add_u32 v135, v78, 4, 0
	ds_read_b128 v[52:55], v139 offset:4896
	ds_read_b128 v[32:35], v136
	ds_read_b128 v[36:39], v135
	s_waitcnt vmcnt(15) lgkmcnt(1)
	v_mul_f64 v[0:1], v[34:35], v[30:31]
	v_mul_f64 v[30:31], v[32:33], v[30:31]
	s_waitcnt vmcnt(14) lgkmcnt(0)
	v_mul_f64 v[40:41], v[38:39], v[26:27]
	v_mul_f64 v[26:27], v[36:37], v[26:27]
	v_fma_f64 v[58:59], v[32:33], v[28:29], -v[0:1]
	v_fma_f64 v[121:122], v[34:35], v[28:29], v[30:31]
	ds_read_b128 v[0:3], v139
	s_waitcnt vmcnt(13)
	v_mul_f64 v[28:29], v[54:55], v[10:11]
	v_mul_f64 v[10:11], v[52:53], v[10:11]
	v_fma_f64 v[123:124], v[36:37], v[24:25], -v[40:41]
	v_fma_f64 v[125:126], v[38:39], v[24:25], v[26:27]
	ds_read_b128 v[30:33], v139 offset:6528
	ds_read_b128 v[24:27], v139 offset:8160
	s_waitcnt lgkmcnt(2)
	v_add_f64 v[34:35], v[0:1], v[58:59]
	v_add_f64 v[36:37], v[2:3], v[121:122]
	v_fma_f64 v[28:29], v[52:53], v[8:9], -v[28:29]
	v_fma_f64 v[40:41], v[54:55], v[8:9], v[10:11]
	s_waitcnt vmcnt(12) lgkmcnt(1)
	v_mul_f64 v[38:39], v[32:33], v[6:7]
	v_mul_f64 v[10:11], v[30:31], v[6:7]
	s_waitcnt vmcnt(11) lgkmcnt(0)
	v_mul_f64 v[52:53], v[26:27], v[22:23]
	v_mul_f64 v[22:23], v[24:25], v[22:23]
	ds_read_b128 v[6:9], v139 offset:9792
	ds_read_b128 v[99:102], v139 offset:11424
	;; [unrolled: 1-line block ×3, first 2 shown]
	v_add_f64 v[34:35], v[34:35], v[123:124]
	v_add_f64 v[36:37], v[36:37], v[125:126]
	v_fma_f64 v[38:39], v[30:31], v[4:5], -v[38:39]
	v_fma_f64 v[46:47], v[32:33], v[4:5], v[10:11]
	v_fma_f64 v[56:57], v[24:25], v[20:21], -v[52:53]
	s_waitcnt vmcnt(10) lgkmcnt(2)
	v_mul_f64 v[10:11], v[8:9], v[18:19]
	v_fma_f64 v[60:61], v[26:27], v[20:21], v[22:23]
	v_mul_f64 v[22:23], v[6:7], v[18:19]
	s_waitcnt vmcnt(9) lgkmcnt(1)
	v_mul_f64 v[26:27], v[101:102], v[14:15]
	v_mul_f64 v[14:15], v[99:100], v[14:15]
	ds_read_b128 v[18:21], v139 offset:13056
	v_add_f64 v[30:31], v[34:35], v[28:29]
	v_add_f64 v[4:5], v[36:37], v[40:41]
	v_fma_f64 v[54:55], v[6:7], v[16:17], -v[10:11]
	s_waitcnt vmcnt(8) lgkmcnt(1)
	v_mul_f64 v[10:11], v[105:106], v[44:45]
	v_fma_f64 v[34:35], v[8:9], v[16:17], v[22:23]
	v_fma_f64 v[32:33], v[99:100], v[12:13], -v[26:27]
	v_fma_f64 v[14:15], v[101:102], v[12:13], v[14:15]
	v_add_f64 v[24:25], v[30:31], v[38:39]
	v_add_f64 v[4:5], v[4:5], v[46:47]
	v_mul_f64 v[30:31], v[103:104], v[44:45]
	v_fma_f64 v[12:13], v[103:104], v[42:43], -v[10:11]
	v_add_f64 v[6:7], v[24:25], v[56:57]
	ds_read_b128 v[22:25], v139 offset:14688
	v_add_f64 v[8:9], v[4:5], v[60:61]
	v_fma_f64 v[4:5], v[105:106], v[42:43], v[30:31]
	s_waitcnt vmcnt(7) lgkmcnt(1)
	v_mul_f64 v[16:17], v[20:21], v[50:51]
	v_mul_f64 v[26:27], v[18:19], v[50:51]
	ds_read_b128 v[105:108], v139 offset:16320
	ds_read_b128 v[50:53], v139 offset:17952
	;; [unrolled: 1-line block ×6, first 2 shown]
	v_add_f64 v[129:130], v[58:59], v[12:13]
	s_waitcnt vmcnt(0) lgkmcnt(0)
	s_barrier
	buffer_gl0_inv
	v_mul_f64 v[36:37], v[24:25], v[64:65]
	v_add_f64 v[6:7], v[6:7], v[54:55]
	v_mul_f64 v[44:45], v[22:23], v[64:65]
	v_add_f64 v[30:31], v[8:9], v[34:35]
	v_add_f64 v[127:128], v[121:122], -v[4:5]
	v_mul_f64 v[64:65], v[107:108], v[68:69]
	v_mul_f64 v[10:11], v[105:106], v[68:69]
	v_fma_f64 v[8:9], v[18:19], v[48:49], -v[16:17]
	v_mul_f64 v[42:43], v[52:53], v[81:82]
	v_fma_f64 v[16:17], v[20:21], v[48:49], v[26:27]
	v_mul_f64 v[48:49], v[50:51], v[81:82]
	v_mul_f64 v[68:69], v[101:102], v[85:86]
	;; [unrolled: 1-line block ×6, first 2 shown]
	v_fma_f64 v[18:19], v[22:23], v[62:63], -v[36:37]
	v_add_f64 v[6:7], v[6:7], v[32:33]
	v_mul_f64 v[22:23], v[115:116], v[93:94]
	v_add_f64 v[20:21], v[30:31], v[14:15]
	v_fma_f64 v[24:25], v[24:25], v[62:63], v[44:45]
	v_mul_f64 v[44:45], v[113:114], v[93:94]
	v_mul_f64 v[93:94], v[119:120], v[97:98]
	v_fma_f64 v[26:27], v[107:108], v[66:67], v[10:11]
	v_mul_f64 v[10:11], v[127:128], s[34:35]
	v_add_f64 v[30:31], v[58:59], -v[12:13]
	v_fma_f64 v[36:37], v[105:106], v[66:67], -v[64:65]
	v_fma_f64 v[58:59], v[99:100], v[83:84], -v[68:69]
	v_fma_f64 v[70:71], v[111:112], v[87:88], v[70:71]
	v_fma_f64 v[68:69], v[109:110], v[87:88], -v[81:82]
	v_mul_f64 v[105:106], v[127:128], s[22:23]
	v_fma_f64 v[66:67], v[50:51], v[79:80], -v[42:43]
	v_mul_f64 v[50:51], v[127:128], s[38:39]
	v_fma_f64 v[64:65], v[52:53], v[79:80], v[48:49]
	v_mul_f64 v[52:53], v[127:128], s[30:31]
	v_fma_f64 v[62:63], v[101:102], v[83:84], v[85:86]
	v_mul_f64 v[83:84], v[127:128], s[14:15]
	v_mul_f64 v[87:88], v[127:128], s[24:25]
	v_fma_f64 v[79:80], v[119:120], v[95:96], v[103:104]
	v_add_f64 v[6:7], v[6:7], v[8:9]
	v_fma_f64 v[97:98], v[113:114], v[91:92], -v[22:23]
	v_add_f64 v[20:21], v[20:21], v[16:17]
	v_add_f64 v[109:110], v[121:122], v[4:5]
	v_fma_f64 v[89:90], v[115:116], v[91:92], v[44:45]
	v_fma_f64 v[81:82], v[117:118], v[95:96], -v[93:94]
	v_mul_f64 v[44:45], v[127:128], s[28:29]
	v_mul_f64 v[91:92], v[127:128], s[20:21]
	v_fma_f64 v[48:49], v[129:130], s[0:1], -v[10:11]
	v_fma_f64 v[107:108], v[129:130], s[0:1], v[10:11]
	v_mul_f64 v[117:118], v[30:31], s[22:23]
	v_add_f64 v[22:23], v[125:126], -v[70:71]
	v_mul_f64 v[133:134], v[30:31], s[24:25]
	v_fma_f64 v[42:43], v[129:130], s[18:19], -v[105:106]
	v_fma_f64 v[103:104], v[129:130], s[18:19], v[105:106]
	v_fma_f64 v[105:106], v[129:130], s[10:11], -v[50:51]
	v_fma_f64 v[101:102], v[129:130], s[10:11], v[50:51]
	;; [unrolled: 2-line block ×4, first 2 shown]
	v_fma_f64 v[85:86], v[129:130], s[12:13], -v[87:88]
	v_add_f64 v[6:7], v[6:7], v[18:19]
	v_fma_f64 v[87:88], v[129:130], s[12:13], v[87:88]
	v_add_f64 v[10:11], v[20:21], v[24:25]
	v_add_f64 v[20:21], v[123:124], -v[68:69]
	v_add_f64 v[52:53], v[40:41], -v[79:80]
	;; [unrolled: 1-line block ×3, first 2 shown]
	v_fma_f64 v[83:84], v[129:130], s[26:27], -v[44:45]
	v_fma_f64 v[95:96], v[129:130], s[26:27], v[44:45]
	v_mul_f64 v[44:45], v[30:31], s[14:15]
	v_fma_f64 v[93:94], v[129:130], s[16:17], -v[91:92]
	v_fma_f64 v[91:92], v[129:130], s[16:17], v[91:92]
	v_fma_f64 v[140:141], v[109:110], s[18:19], v[117:118]
	v_mul_f64 v[142:143], v[22:23], s[34:35]
	v_mul_f64 v[119:120], v[30:31], s[34:35]
	;; [unrolled: 1-line block ×5, first 2 shown]
	v_fma_f64 v[117:118], v[109:110], s[18:19], -v[117:118]
	v_fma_f64 v[154:155], v[109:110], s[12:13], v[133:134]
	v_fma_f64 v[156:157], v[109:110], s[12:13], -v[133:134]
	v_add_f64 v[133:134], v[0:1], v[42:43]
	v_add_f64 v[42:43], v[38:39], -v[97:98]
	v_add_f64 v[131:132], v[6:7], v[36:37]
	v_add_f64 v[6:7], v[125:126], v[70:71]
	;; [unrolled: 1-line block ×4, first 2 shown]
	v_mul_f64 v[144:145], v[20:21], s[34:35]
	v_mul_f64 v[123:124], v[30:31], s[20:21]
	v_add_f64 v[30:31], v[28:29], v[81:82]
	v_add_f64 v[28:29], v[40:41], v[79:80]
	v_fma_f64 v[150:151], v[109:110], s[6:7], v[44:45]
	v_fma_f64 v[152:153], v[109:110], s[6:7], -v[44:45]
	v_mul_f64 v[162:163], v[52:53], s[38:39]
	v_add_f64 v[140:141], v[2:3], v[140:141]
	v_mul_f64 v[164:165], v[50:51], s[38:39]
	v_add_f64 v[44:45], v[46:47], -v[89:90]
	v_fma_f64 v[125:126], v[109:110], s[0:1], v[119:120]
	v_fma_f64 v[119:120], v[109:110], s[0:1], -v[119:120]
	v_fma_f64 v[146:147], v[109:110], s[10:11], v[121:122]
	v_fma_f64 v[121:122], v[109:110], s[10:11], -v[121:122]
	v_fma_f64 v[148:149], v[109:110], s[4:5], v[127:128]
	v_add_f64 v[172:173], v[2:3], v[117:118]
	v_add_f64 v[174:175], v[0:1], v[48:49]
	v_add_f64 v[178:179], v[0:1], v[107:108]
	v_add_f64 v[131:132], v[131:132], v[66:67]
	v_add_f64 v[180:181], v[0:1], v[105:106]
	v_add_f64 v[129:130], v[129:130], v[64:65]
	v_fma_f64 v[158:159], v[10:11], s[0:1], -v[142:143]
	v_fma_f64 v[160:161], v[6:7], s[0:1], v[144:145]
	v_add_f64 v[40:41], v[38:39], v[97:98]
	v_add_f64 v[38:39], v[46:47], v[89:90]
	v_mul_f64 v[182:183], v[42:43], s[30:31]
	v_add_f64 v[48:49], v[60:61], -v[62:63]
	v_add_f64 v[46:47], v[56:57], -v[58:59]
	v_fma_f64 v[127:128], v[109:110], s[4:5], -v[127:128]
	v_fma_f64 v[166:167], v[109:110], s[26:27], v[137:138]
	v_fma_f64 v[137:138], v[109:110], s[26:27], -v[137:138]
	v_fma_f64 v[168:169], v[109:110], s[16:17], v[123:124]
	v_fma_f64 v[170:171], v[109:110], s[16:17], -v[123:124]
	v_add_f64 v[103:104], v[0:1], v[103:104]
	v_add_f64 v[109:110], v[2:3], v[119:120]
	;; [unrolled: 1-line block ×12, first 2 shown]
	v_fma_f64 v[140:141], v[30:31], s[10:11], -v[162:163]
	v_fma_f64 v[158:159], v[28:29], s[10:11], v[164:165]
	v_mul_f64 v[160:161], v[44:45], s[30:31]
	v_add_f64 v[133:134], v[0:1], v[101:102]
	v_add_f64 v[121:122], v[2:3], v[148:149]
	v_fma_f64 v[101:102], v[10:11], s[0:1], v[142:143]
	v_add_f64 v[58:59], v[56:57], v[58:59]
	v_add_f64 v[56:57], v[60:61], v[62:63]
	v_mul_f64 v[148:149], v[48:49], s[14:15]
	v_mul_f64 v[150:151], v[46:47], s[14:15]
	v_add_f64 v[62:63], v[34:35], -v[64:65]
	v_add_f64 v[115:116], v[2:3], v[127:128]
	v_add_f64 v[60:61], v[54:55], -v[66:67]
	v_add_f64 v[127:128], v[0:1], v[85:86]
	v_add_f64 v[85:86], v[2:3], v[166:167]
	;; [unrolled: 1-line block ×3, first 2 shown]
	v_fma_f64 v[164:165], v[28:29], s[10:11], -v[164:165]
	v_add_f64 v[97:98], v[117:118], v[97:98]
	v_add_f64 v[117:118], v[0:1], v[113:114]
	;; [unrolled: 1-line block ×3, first 2 shown]
	v_fma_f64 v[107:108], v[6:7], s[0:1], -v[144:145]
	v_fma_f64 v[144:145], v[38:39], s[4:5], v[182:183]
	v_add_f64 v[105:106], v[140:141], v[105:106]
	v_add_f64 v[140:141], v[158:159], v[129:130]
	v_fma_f64 v[142:143], v[40:41], s[4:5], -v[160:161]
	v_add_f64 v[113:114], v[0:1], v[111:112]
	v_add_f64 v[111:112], v[2:3], v[152:153]
	;; [unrolled: 1-line block ×4, first 2 shown]
	v_mul_f64 v[152:153], v[22:23], s[30:31]
	v_add_f64 v[154:155], v[101:102], v[103:104]
	v_fma_f64 v[156:157], v[30:31], s[10:11], v[162:163]
	v_mul_f64 v[158:159], v[20:21], s[30:31]
	v_add_f64 v[64:65], v[34:35], v[64:65]
	v_mul_f64 v[166:167], v[62:63], s[24:25]
	v_add_f64 v[87:88], v[0:1], v[87:88]
	v_add_f64 v[83:84], v[0:1], v[83:84]
	;; [unrolled: 1-line block ×3, first 2 shown]
	v_add_f64 v[66:67], v[14:15], -v[26:27]
	v_add_f64 v[81:82], v[97:98], v[81:82]
	v_add_f64 v[101:102], v[0:1], v[93:94]
	;; [unrolled: 1-line block ×4, first 2 shown]
	v_mul_f64 v[172:173], v[60:61], s[24:25]
	v_add_f64 v[107:108], v[2:3], v[137:138]
	v_add_f64 v[140:141], v[144:145], v[140:141]
	;; [unrolled: 1-line block ×3, first 2 shown]
	v_fma_f64 v[142:143], v[58:59], s[6:7], -v[148:149]
	v_fma_f64 v[144:145], v[56:57], s[6:7], v[150:151]
	v_add_f64 v[105:106], v[2:3], v[168:169]
	v_add_f64 v[99:100], v[0:1], v[91:92]
	;; [unrolled: 1-line block ×3, first 2 shown]
	v_fma_f64 v[0:1], v[10:11], s[4:5], -v[152:153]
	v_mul_f64 v[95:96], v[52:53], s[24:25]
	v_add_f64 v[137:138], v[156:157], v[154:155]
	v_fma_f64 v[154:155], v[6:7], s[4:5], v[158:159]
	v_mul_f64 v[156:157], v[50:51], s[24:25]
	v_fma_f64 v[160:161], v[40:41], s[4:5], v[160:161]
	v_add_f64 v[2:3], v[32:33], v[36:37]
	v_add_f64 v[93:94], v[16:17], -v[24:25]
	v_add_f64 v[91:92], v[8:9], -v[18:19]
	v_add_f64 v[81:82], v[81:82], v[68:69]
	v_add_f64 v[68:69], v[32:33], -v[36:37]
	v_add_f64 v[70:71], v[79:80], v[70:71]
	v_add_f64 v[162:163], v[164:165], v[162:163]
	v_fma_f64 v[164:165], v[38:39], s[4:5], -v[182:183]
	v_mul_f64 v[36:37], v[22:23], s[24:25]
	v_mul_f64 v[32:33], v[66:67], s[28:29]
	;; [unrolled: 1-line block ×3, first 2 shown]
	v_add_f64 v[34:35], v[142:143], v[34:35]
	v_add_f64 v[79:80], v[144:145], v[140:141]
	v_fma_f64 v[140:141], v[54:55], s[12:13], -v[166:167]
	v_mul_f64 v[144:145], v[20:21], s[24:25]
	v_fma_f64 v[142:143], v[64:65], s[12:13], v[172:173]
	v_add_f64 v[0:1], v[0:1], v[174:175]
	v_fma_f64 v[168:169], v[30:31], s[12:13], -v[95:96]
	v_fma_f64 v[148:149], v[58:59], s[6:7], v[148:149]
	v_add_f64 v[154:155], v[154:155], v[176:177]
	v_fma_f64 v[174:175], v[28:29], s[12:13], v[156:157]
	v_mul_f64 v[176:177], v[42:43], s[20:21]
	v_add_f64 v[137:138], v[160:161], v[137:138]
	v_fma_f64 v[150:151], v[56:57], s[6:7], -v[150:151]
	v_mul_f64 v[182:183], v[50:51], s[52:53]
	v_add_f64 v[12:13], v[81:82], v[12:13]
	v_add_f64 v[81:82], v[14:15], v[26:27]
	v_mul_f64 v[26:27], v[68:69], s[28:29]
	v_add_f64 v[14:15], v[70:71], v[4:5]
	v_add_f64 v[160:161], v[164:165], v[162:163]
	v_mul_f64 v[164:165], v[52:53], s[52:53]
	v_add_f64 v[70:71], v[16:17], v[24:25]
	v_fma_f64 v[16:17], v[40:41], s[16:17], -v[170:171]
	v_mul_f64 v[24:25], v[48:49], s[44:45]
	v_fma_f64 v[95:96], v[30:31], s[12:13], v[95:96]
	v_add_f64 v[4:5], v[140:141], v[34:35]
	v_fma_f64 v[140:141], v[10:11], s[4:5], v[152:153]
	v_fma_f64 v[152:153], v[10:11], s[12:13], -v[36:37]
	v_fma_f64 v[162:163], v[6:7], s[12:13], v[144:145]
	v_add_f64 v[34:35], v[142:143], v[79:80]
	v_fma_f64 v[142:143], v[2:3], s[26:27], -v[32:33]
	v_add_f64 v[79:80], v[8:9], v[18:19]
	v_mul_f64 v[8:9], v[93:94], s[20:21]
	v_add_f64 v[0:1], v[168:169], v[0:1]
	v_add_f64 v[18:19], v[174:175], v[154:155]
	v_fma_f64 v[154:155], v[38:39], s[16:17], v[176:177]
	v_mul_f64 v[168:169], v[91:92], s[20:21]
	v_mul_f64 v[174:175], v[46:47], s[44:45]
	v_add_f64 v[137:138], v[148:149], v[137:138]
	v_fma_f64 v[184:185], v[81:82], s[26:27], v[26:27]
	v_fma_f64 v[36:37], v[10:11], s[12:13], v[36:37]
	v_add_f64 v[148:149], v[150:151], v[160:161]
	v_fma_f64 v[150:151], v[6:7], s[4:5], -v[158:159]
	v_fma_f64 v[158:159], v[54:55], s[12:13], v[166:167]
	v_fma_f64 v[160:161], v[64:65], s[12:13], -v[172:173]
	v_fma_f64 v[166:167], v[28:29], s[16:17], v[182:183]
	v_mul_f64 v[172:173], v[44:45], s[42:43]
	v_fma_f64 v[144:145], v[6:7], s[12:13], -v[144:145]
	v_add_f64 v[140:141], v[140:141], v[178:179]
	v_add_f64 v[152:153], v[152:153], v[180:181]
	;; [unrolled: 1-line block ×3, first 2 shown]
	v_fma_f64 v[162:163], v[30:31], s[16:17], -v[164:165]
	v_mul_f64 v[178:179], v[42:43], s[42:43]
	v_add_f64 v[4:5], v[142:143], v[4:5]
	v_fma_f64 v[142:143], v[79:80], s[16:17], -v[8:9]
	v_add_f64 v[0:1], v[16:17], v[0:1]
	v_fma_f64 v[16:17], v[58:59], s[26:27], -v[24:25]
	v_add_f64 v[18:19], v[154:155], v[18:19]
	v_mul_f64 v[180:181], v[62:63], s[42:43]
	v_fma_f64 v[154:155], v[56:57], s[26:27], v[174:175]
	v_fma_f64 v[26:27], v[81:82], s[26:27], -v[26:27]
	v_add_f64 v[34:35], v[184:185], v[34:35]
	v_mul_f64 v[184:185], v[60:61], s[42:43]
	v_add_f64 v[36:37], v[36:37], v[133:134]
	v_add_f64 v[109:110], v[150:151], v[109:110]
	v_fma_f64 v[150:151], v[28:29], s[12:13], -v[156:157]
	v_fma_f64 v[156:157], v[70:71], s[16:17], v[168:169]
	v_add_f64 v[137:138], v[158:159], v[137:138]
	v_add_f64 v[148:149], v[160:161], v[148:149]
	v_fma_f64 v[158:159], v[40:41], s[6:7], -v[172:173]
	v_add_f64 v[95:96], v[95:96], v[140:141]
	v_fma_f64 v[140:141], v[40:41], s[16:17], v[170:171]
	v_add_f64 v[146:147], v[166:167], v[146:147]
	v_add_f64 v[152:153], v[162:163], v[152:153]
	v_fma_f64 v[160:161], v[38:39], s[6:7], v[178:179]
	v_mul_f64 v[162:163], v[48:49], s[40:41]
	v_mul_f64 v[166:167], v[46:47], s[40:41]
	v_fma_f64 v[133:134], v[30:31], s[16:17], v[164:165]
	v_fma_f64 v[32:33], v[2:3], s[26:27], v[32:33]
	v_add_f64 v[0:1], v[16:17], v[0:1]
	v_add_f64 v[131:132], v[144:145], v[131:132]
	v_fma_f64 v[144:145], v[28:29], s[16:17], -v[182:183]
	v_add_f64 v[154:155], v[154:155], v[18:19]
	v_fma_f64 v[164:165], v[54:55], s[6:7], -v[180:181]
	v_fma_f64 v[170:171], v[64:65], s[6:7], v[184:185]
	v_add_f64 v[16:17], v[142:143], v[4:5]
	v_mul_f64 v[4:5], v[66:67], s[36:37]
	v_add_f64 v[109:110], v[150:151], v[109:110]
	v_fma_f64 v[150:151], v[38:39], s[16:17], -v[176:177]
	v_mul_f64 v[142:143], v[68:69], s[36:37]
	v_add_f64 v[18:19], v[156:157], v[34:35]
	v_fma_f64 v[24:25], v[58:59], s[26:27], v[24:25]
	v_mul_f64 v[176:177], v[66:67], s[30:31]
	v_add_f64 v[34:35], v[140:141], v[95:96]
	v_add_f64 v[95:96], v[26:27], v[148:149]
	;; [unrolled: 1-line block ×4, first 2 shown]
	v_fma_f64 v[152:153], v[58:59], s[0:1], -v[162:163]
	v_fma_f64 v[156:157], v[56:57], s[0:1], v[166:167]
	v_mul_f64 v[158:159], v[62:63], s[22:23]
	v_mul_f64 v[160:161], v[60:61], s[22:23]
	v_add_f64 v[26:27], v[133:134], v[36:37]
	v_mul_f64 v[36:37], v[22:23], s[20:21]
	v_add_f64 v[32:33], v[32:33], v[137:138]
	v_add_f64 v[131:132], v[144:145], v[131:132]
	v_fma_f64 v[133:134], v[40:41], s[6:7], v[172:173]
	v_fma_f64 v[137:138], v[38:39], s[6:7], -v[178:179]
	v_add_f64 v[0:1], v[164:165], v[0:1]
	v_add_f64 v[144:145], v[170:171], v[154:155]
	v_fma_f64 v[154:155], v[2:3], s[10:11], -v[4:5]
	v_add_f64 v[148:149], v[150:151], v[109:110]
	v_fma_f64 v[150:151], v[56:57], s[26:27], -v[174:175]
	v_fma_f64 v[164:165], v[81:82], s[10:11], v[142:143]
	v_mul_f64 v[170:171], v[20:21], s[20:21]
	v_mul_f64 v[172:173], v[93:94], s[46:47]
	;; [unrolled: 1-line block ×3, first 2 shown]
	v_add_f64 v[24:25], v[24:25], v[34:35]
	v_fma_f64 v[34:35], v[54:55], s[6:7], v[180:181]
	v_mul_f64 v[178:179], v[68:69], s[30:31]
	v_add_f64 v[140:141], v[152:153], v[140:141]
	v_add_f64 v[146:147], v[156:157], v[146:147]
	v_fma_f64 v[152:153], v[54:55], s[18:19], -v[158:159]
	v_fma_f64 v[156:157], v[64:65], s[18:19], v[160:161]
	v_mul_f64 v[182:183], v[52:53], s[42:43]
	v_fma_f64 v[180:181], v[10:11], s[16:17], -v[36:37]
	v_fma_f64 v[8:9], v[79:80], s[16:17], v[8:9]
	v_fma_f64 v[109:110], v[70:71], s[16:17], -v[168:169]
	v_add_f64 v[26:27], v[133:134], v[26:27]
	v_add_f64 v[131:132], v[137:138], v[131:132]
	v_fma_f64 v[133:134], v[58:59], s[0:1], v[162:163]
	v_fma_f64 v[137:138], v[56:57], s[0:1], -v[166:167]
	v_add_f64 v[154:155], v[154:155], v[0:1]
	v_mul_f64 v[162:163], v[50:51], s[42:43]
	v_add_f64 v[148:149], v[150:151], v[148:149]
	v_fma_f64 v[150:151], v[64:65], s[6:7], -v[184:185]
	v_fma_f64 v[0:1], v[6:7], s[16:17], v[170:171]
	v_add_f64 v[144:145], v[164:165], v[144:145]
	v_fma_f64 v[164:165], v[79:80], s[18:19], -v[172:173]
	v_fma_f64 v[166:167], v[70:71], s[18:19], v[174:175]
	v_add_f64 v[34:35], v[34:35], v[24:25]
	v_fma_f64 v[4:5], v[2:3], s[10:11], v[4:5]
	v_mul_f64 v[168:169], v[93:94], s[28:29]
	v_mul_f64 v[184:185], v[44:45], s[46:47]
	v_add_f64 v[140:141], v[152:153], v[140:141]
	v_add_f64 v[146:147], v[156:157], v[146:147]
	v_fma_f64 v[152:153], v[2:3], s[4:5], -v[176:177]
	v_fma_f64 v[156:157], v[81:82], s[4:5], v[178:179]
	v_add_f64 v[123:124], v[180:181], v[123:124]
	v_fma_f64 v[180:181], v[30:31], s[6:7], -v[182:183]
	v_mul_f64 v[186:187], v[91:92], s[28:29]
	v_fma_f64 v[142:143], v[81:82], s[10:11], -v[142:143]
	v_add_f64 v[133:134], v[133:134], v[26:27]
	v_add_f64 v[131:132], v[137:138], v[131:132]
	v_fma_f64 v[137:138], v[54:55], s[18:19], v[158:159]
	v_fma_f64 v[158:159], v[64:65], s[18:19], -v[160:161]
	v_fma_f64 v[160:161], v[28:29], s[6:7], v[162:163]
	v_add_f64 v[148:149], v[150:151], v[148:149]
	v_add_f64 v[150:151], v[0:1], v[121:122]
	v_mul_f64 v[188:189], v[42:43], s[46:47]
	v_add_f64 v[0:1], v[8:9], v[32:33]
	v_add_f64 v[24:25], v[164:165], v[154:155]
	;; [unrolled: 1-line block ×3, first 2 shown]
	v_mul_f64 v[8:9], v[22:23], s[44:45]
	v_mul_f64 v[144:145], v[20:21], s[44:45]
	v_add_f64 v[4:5], v[4:5], v[34:35]
	v_fma_f64 v[32:33], v[79:80], s[18:19], v[172:173]
	v_fma_f64 v[36:37], v[10:11], s[16:17], v[36:37]
	v_add_f64 v[34:35], v[152:153], v[140:141]
	v_fma_f64 v[140:141], v[79:80], s[26:27], -v[168:169]
	v_fma_f64 v[154:155], v[40:41], s[18:19], -v[184:185]
	v_add_f64 v[152:153], v[180:181], v[123:124]
	v_mul_f64 v[164:165], v[48:49], s[38:39]
	v_add_f64 v[146:147], v[156:157], v[146:147]
	v_fma_f64 v[156:157], v[70:71], s[26:27], v[186:187]
	v_fma_f64 v[123:124], v[70:71], s[18:19], -v[174:175]
	v_add_f64 v[133:134], v[137:138], v[133:134]
	v_add_f64 v[131:132], v[158:159], v[131:132]
	v_fma_f64 v[137:138], v[2:3], s[4:5], v[176:177]
	v_fma_f64 v[158:159], v[81:82], s[4:5], -v[178:179]
	v_add_f64 v[121:122], v[142:143], v[148:149]
	v_add_f64 v[142:143], v[160:161], v[150:151]
	v_fma_f64 v[148:149], v[38:39], s[18:19], v[188:189]
	v_mul_f64 v[150:151], v[46:47], s[38:39]
	v_fma_f64 v[160:161], v[6:7], s[16:17], -v[170:171]
	v_fma_f64 v[166:167], v[10:11], s[26:27], -v[8:9]
	v_fma_f64 v[170:171], v[6:7], s[26:27], v[144:145]
	v_mul_f64 v[172:173], v[52:53], s[40:41]
	v_mul_f64 v[174:175], v[50:51], s[40:41]
	v_add_f64 v[4:5], v[32:33], v[4:5]
	v_add_f64 v[36:37], v[36:37], v[125:126]
	;; [unrolled: 1-line block ×3, first 2 shown]
	v_fma_f64 v[140:141], v[30:31], s[6:7], v[182:183]
	v_add_f64 v[152:153], v[154:155], v[152:153]
	v_fma_f64 v[154:155], v[58:59], s[10:11], -v[164:165]
	v_fma_f64 v[8:9], v[10:11], s[26:27], v[8:9]
	v_add_f64 v[34:35], v[156:157], v[146:147]
	v_mul_f64 v[146:147], v[62:63], s[28:29]
	v_fma_f64 v[144:145], v[6:7], s[26:27], -v[144:145]
	v_fma_f64 v[156:157], v[28:29], s[6:7], -v[162:163]
	v_add_f64 v[133:134], v[137:138], v[133:134]
	v_add_f64 v[125:126], v[158:159], v[131:132]
	v_mul_f64 v[137:138], v[20:21], s[42:43]
	v_mul_f64 v[162:163], v[44:45], s[38:39]
	v_add_f64 v[142:143], v[148:149], v[142:143]
	v_fma_f64 v[148:149], v[56:57], s[10:11], v[150:151]
	v_add_f64 v[115:116], v[160:161], v[115:116]
	v_add_f64 v[117:118], v[166:167], v[117:118]
	;; [unrolled: 1-line block ×3, first 2 shown]
	v_fma_f64 v[158:159], v[30:31], s[0:1], -v[172:173]
	v_fma_f64 v[160:161], v[28:29], s[0:1], v[174:175]
	v_mul_f64 v[166:167], v[42:43], s[38:39]
	v_fma_f64 v[170:171], v[28:29], s[0:1], -v[174:175]
	v_mul_f64 v[131:132], v[22:23], s[42:43]
	v_add_f64 v[36:37], v[140:141], v[36:37]
	v_fma_f64 v[140:141], v[40:41], s[18:19], v[184:185]
	v_add_f64 v[152:153], v[154:155], v[152:153]
	v_add_f64 v[8:9], v[8:9], v[113:114]
	v_fma_f64 v[113:114], v[30:31], s[0:1], v[172:173]
	v_fma_f64 v[154:155], v[54:55], s[26:27], -v[146:147]
	v_add_f64 v[144:145], v[144:145], v[111:112]
	v_mul_f64 v[180:181], v[66:67], s[50:51]
	v_mul_f64 v[182:183], v[46:47], s[20:21]
	;; [unrolled: 1-line block ×3, first 2 shown]
	v_fma_f64 v[174:175], v[6:7], s[6:7], v[137:138]
	v_mul_f64 v[178:179], v[50:51], s[22:23]
	v_fma_f64 v[111:112], v[70:71], s[26:27], -v[186:187]
	v_add_f64 v[142:143], v[148:149], v[142:143]
	v_mul_f64 v[148:149], v[60:61], s[28:29]
	v_add_f64 v[115:116], v[156:157], v[115:116]
	v_fma_f64 v[156:157], v[40:41], s[10:11], -v[162:163]
	v_add_f64 v[117:118], v[158:159], v[117:118]
	v_add_f64 v[119:120], v[160:161], v[119:120]
	v_fma_f64 v[158:159], v[38:39], s[10:11], v[166:167]
	v_mul_f64 v[160:161], v[48:49], s[20:21]
	v_fma_f64 v[172:173], v[10:11], s[6:7], -v[131:132]
	v_fma_f64 v[164:165], v[58:59], s[10:11], v[164:165]
	v_add_f64 v[36:37], v[140:141], v[36:37]
	v_fma_f64 v[140:141], v[38:39], s[18:19], -v[188:189]
	v_mul_f64 v[186:187], v[68:69], s[50:51]
	v_add_f64 v[8:9], v[113:114], v[8:9]
	v_fma_f64 v[113:114], v[40:41], s[10:11], v[162:163]
	v_add_f64 v[152:153], v[154:155], v[152:153]
	v_add_f64 v[144:145], v[170:171], v[144:145]
	v_fma_f64 v[154:155], v[38:39], s[10:11], -v[166:167]
	v_fma_f64 v[184:185], v[2:3], s[12:13], -v[180:181]
	v_add_f64 v[129:130], v[174:175], v[129:130]
	v_mul_f64 v[188:189], v[93:94], s[40:41]
	v_mul_f64 v[190:191], v[62:63], s[48:49]
	;; [unrolled: 1-line block ×3, first 2 shown]
	v_fma_f64 v[174:175], v[64:65], s[26:27], v[148:149]
	v_fma_f64 v[150:151], v[56:57], s[10:11], -v[150:151]
	v_fma_f64 v[162:163], v[30:31], s[18:19], -v[176:177]
	v_add_f64 v[117:118], v[156:157], v[117:118]
	v_fma_f64 v[166:167], v[28:29], s[18:19], v[178:179]
	v_add_f64 v[119:120], v[158:159], v[119:120]
	v_fma_f64 v[156:157], v[58:59], s[16:17], -v[160:161]
	v_fma_f64 v[158:159], v[56:57], s[16:17], v[182:183]
	v_add_f64 v[127:128], v[172:173], v[127:128]
	v_mul_f64 v[172:173], v[42:43], s[28:29]
	v_add_f64 v[115:116], v[140:141], v[115:116]
	v_fma_f64 v[140:141], v[58:59], s[16:17], v[160:161]
	v_fma_f64 v[168:169], v[79:80], s[26:27], v[168:169]
	v_add_f64 v[8:9], v[113:114], v[8:9]
	v_add_f64 v[36:37], v[164:165], v[36:37]
	v_fma_f64 v[146:147], v[54:55], s[26:27], v[146:147]
	v_add_f64 v[144:145], v[154:155], v[144:145]
	v_fma_f64 v[154:155], v[56:57], s[16:17], -v[182:183]
	v_add_f64 v[152:153], v[184:185], v[152:153]
	v_fma_f64 v[182:183], v[79:80], s[0:1], -v[188:189]
	v_mul_f64 v[184:185], v[66:67], s[22:23]
	v_mul_f64 v[194:195], v[68:69], s[22:23]
	v_add_f64 v[142:143], v[174:175], v[142:143]
	v_fma_f64 v[174:175], v[81:82], s[12:13], v[186:187]
	v_fma_f64 v[148:149], v[64:65], s[26:27], -v[148:149]
	v_fma_f64 v[180:181], v[2:3], s[12:13], v[180:181]
	v_add_f64 v[129:130], v[166:167], v[129:130]
	v_mul_f64 v[166:167], v[46:47], s[48:49]
	v_add_f64 v[117:118], v[156:157], v[117:118]
	v_add_f64 v[119:120], v[158:159], v[119:120]
	v_fma_f64 v[156:157], v[54:55], s[4:5], -v[190:191]
	v_fma_f64 v[158:159], v[64:65], s[4:5], v[192:193]
	v_fma_f64 v[190:191], v[54:55], s[4:5], v[190:191]
	v_add_f64 v[150:151], v[150:151], v[115:116]
	v_add_f64 v[127:128], v[162:163], v[127:128]
	;; [unrolled: 1-line block ×3, first 2 shown]
	v_fma_f64 v[162:163], v[38:39], s[26:27], v[172:173]
	v_add_f64 v[146:147], v[146:147], v[36:37]
	v_add_f64 v[8:9], v[168:169], v[133:134]
	;; [unrolled: 1-line block ×3, first 2 shown]
	v_fma_f64 v[154:155], v[64:65], s[4:5], -v[192:193]
	v_add_f64 v[36:37], v[182:183], v[152:153]
	v_fma_f64 v[152:153], v[2:3], s[18:19], -v[184:185]
	v_fma_f64 v[168:169], v[2:3], s[18:19], v[184:185]
	v_fma_f64 v[131:132], v[10:11], s[6:7], v[131:132]
	v_add_f64 v[115:116], v[174:175], v[142:143]
	v_fma_f64 v[137:138], v[6:7], s[6:7], -v[137:138]
	v_mul_f64 v[170:171], v[44:45], s[28:29]
	v_mul_f64 v[164:165], v[48:49], s[48:49]
	v_fma_f64 v[192:193], v[56:57], s[4:5], v[166:167]
	v_mul_f64 v[196:197], v[62:63], s[34:35]
	v_mul_f64 v[198:199], v[60:61], s[34:35]
	v_add_f64 v[133:134], v[156:157], v[117:118]
	v_add_f64 v[142:143], v[158:159], v[119:120]
	v_mul_f64 v[158:159], v[93:94], s[24:25]
	v_add_f64 v[119:120], v[148:149], v[150:151]
	v_mul_f64 v[148:149], v[22:23], s[36:37]
	v_add_f64 v[140:141], v[190:191], v[140:141]
	v_mul_f64 v[150:151], v[20:21], s[36:37]
	v_add_f64 v[129:130], v[162:163], v[129:130]
	v_mul_f64 v[22:23], v[22:23], s[46:47]
	v_mul_f64 v[20:21], v[20:21], s[46:47]
	v_add_f64 v[144:145], v[154:155], v[144:145]
	v_fma_f64 v[154:155], v[81:82], s[18:19], -v[194:195]
	v_add_f64 v[146:147], v[180:181], v[146:147]
	v_fma_f64 v[180:181], v[81:82], s[12:13], -v[186:187]
	v_fma_f64 v[186:187], v[79:80], s[0:1], v[188:189]
	v_mul_f64 v[188:189], v[52:53], s[30:31]
	v_mul_f64 v[190:191], v[50:51], s[30:31]
	v_fma_f64 v[156:157], v[81:82], s[18:19], v[194:195]
	v_mul_f64 v[52:53], v[52:53], s[28:29]
	v_mul_f64 v[50:51], v[50:51], s[28:29]
	v_fma_f64 v[160:161], v[40:41], s[26:27], -v[170:171]
	v_fma_f64 v[162:163], v[58:59], s[4:5], -v[164:165]
	v_add_f64 v[133:134], v[152:153], v[133:134]
	v_fma_f64 v[174:175], v[64:65], s[0:1], v[198:199]
	v_fma_f64 v[152:153], v[79:80], s[12:13], -v[158:159]
	v_mul_f64 v[182:183], v[66:67], s[20:21]
	v_mul_f64 v[184:185], v[68:69], s[20:21]
	v_add_f64 v[140:141], v[168:169], v[140:141]
	v_fma_f64 v[168:169], v[6:7], s[10:11], v[150:151]
	v_add_f64 v[129:130], v[192:193], v[129:130]
	v_fma_f64 v[150:151], v[6:7], s[10:11], -v[150:151]
	v_fma_f64 v[192:193], v[10:11], s[18:19], -v[22:23]
	v_fma_f64 v[194:195], v[6:7], s[18:19], v[20:21]
	v_add_f64 v[144:145], v[154:155], v[144:145]
	v_fma_f64 v[154:155], v[79:80], s[12:13], v[158:159]
	v_fma_f64 v[158:159], v[10:11], s[10:11], -v[148:149]
	v_fma_f64 v[148:149], v[10:11], s[10:11], v[148:149]
	v_fma_f64 v[10:11], v[10:11], s[18:19], v[22:23]
	v_fma_f64 v[6:7], v[6:7], s[18:19], -v[20:21]
	v_add_f64 v[20:21], v[131:132], v[87:88]
	v_add_f64 v[22:23], v[137:138], v[89:90]
	v_fma_f64 v[87:88], v[30:31], s[18:19], v[176:177]
	v_fma_f64 v[89:90], v[28:29], s[18:19], -v[178:179]
	v_fma_f64 v[131:132], v[30:31], s[4:5], -v[188:189]
	v_fma_f64 v[137:138], v[28:29], s[4:5], v[190:191]
	v_fma_f64 v[176:177], v[30:31], s[26:27], -v[52:53]
	v_fma_f64 v[178:179], v[28:29], s[26:27], v[50:51]
	v_add_f64 v[160:161], v[160:161], v[127:128]
	v_mul_f64 v[113:114], v[91:92], s[40:41]
	v_mul_f64 v[127:128], v[91:92], s[24:25]
	v_add_f64 v[85:86], v[168:169], v[85:86]
	v_mul_f64 v[168:169], v[42:43], s[50:51]
	v_add_f64 v[107:108], v[150:151], v[107:108]
	v_fma_f64 v[150:151], v[28:29], s[4:5], -v[190:191]
	v_add_f64 v[101:102], v[192:193], v[101:102]
	v_add_f64 v[105:106], v[194:195], v[105:106]
	v_mul_f64 v[42:43], v[42:43], s[40:41]
	v_add_f64 v[83:84], v[158:159], v[83:84]
	v_mul_f64 v[158:159], v[44:45], s[50:51]
	v_add_f64 v[103:104], v[148:149], v[103:104]
	v_fma_f64 v[148:149], v[30:31], s[4:5], v[188:189]
	v_mul_f64 v[44:45], v[44:45], s[40:41]
	v_add_f64 v[10:11], v[10:11], v[99:100]
	v_add_f64 v[6:7], v[6:7], v[97:98]
	v_fma_f64 v[30:31], v[30:31], s[26:27], v[52:53]
	v_fma_f64 v[28:29], v[28:29], s[26:27], -v[50:51]
	v_add_f64 v[20:21], v[87:88], v[20:21]
	v_add_f64 v[22:23], v[89:90], v[22:23]
	v_fma_f64 v[50:51], v[40:41], s[26:27], v[170:171]
	v_fma_f64 v[52:53], v[38:39], s[26:27], -v[172:173]
	v_mul_f64 v[97:98], v[48:49], s[22:23]
	v_mul_f64 v[99:100], v[46:47], s[22:23]
	v_add_f64 v[85:86], v[137:138], v[85:86]
	v_fma_f64 v[89:90], v[38:39], s[12:13], v[168:169]
	v_fma_f64 v[137:138], v[38:39], s[12:13], -v[168:169]
	v_add_f64 v[107:108], v[150:151], v[107:108]
	v_add_f64 v[101:102], v[176:177], v[101:102]
	;; [unrolled: 1-line block ×3, first 2 shown]
	v_fma_f64 v[150:151], v[38:39], s[0:1], v[42:43]
	v_add_f64 v[83:84], v[131:132], v[83:84]
	v_fma_f64 v[87:88], v[40:41], s[12:13], -v[158:159]
	v_fma_f64 v[131:132], v[40:41], s[12:13], v[158:159]
	v_add_f64 v[103:104], v[148:149], v[103:104]
	v_fma_f64 v[148:149], v[40:41], s[0:1], -v[44:45]
	v_mul_f64 v[48:49], v[48:49], s[24:25]
	v_mul_f64 v[46:47], v[46:47], s[24:25]
	v_add_f64 v[10:11], v[30:31], v[10:11]
	v_add_f64 v[6:7], v[28:29], v[6:7]
	v_fma_f64 v[28:29], v[40:41], s[0:1], v[44:45]
	v_fma_f64 v[30:31], v[38:39], s[0:1], -v[42:43]
	v_add_f64 v[20:21], v[50:51], v[20:21]
	v_add_f64 v[22:23], v[52:53], v[22:23]
	v_fma_f64 v[50:51], v[58:59], s[18:19], -v[97:98]
	v_fma_f64 v[52:53], v[56:57], s[18:19], v[99:100]
	v_fma_f64 v[97:98], v[58:59], s[18:19], v[97:98]
	v_add_f64 v[44:45], v[89:90], v[85:86]
	v_mul_f64 v[85:86], v[60:61], s[20:21]
	v_add_f64 v[89:90], v[137:138], v[107:108]
	v_fma_f64 v[99:100], v[56:57], s[18:19], -v[99:100]
	v_mul_f64 v[60:61], v[60:61], s[36:37]
	v_fma_f64 v[38:39], v[58:59], s[4:5], v[164:165]
	v_fma_f64 v[40:41], v[56:57], s[4:5], -v[166:167]
	v_add_f64 v[42:43], v[87:88], v[83:84]
	v_mul_f64 v[83:84], v[62:63], s[20:21]
	v_add_f64 v[87:88], v[131:132], v[103:104]
	v_add_f64 v[101:102], v[148:149], v[101:102]
	;; [unrolled: 1-line block ×3, first 2 shown]
	v_fma_f64 v[105:106], v[58:59], s[12:13], -v[48:49]
	v_fma_f64 v[107:108], v[56:57], s[12:13], v[46:47]
	v_mul_f64 v[62:63], v[62:63], s[36:37]
	v_add_f64 v[10:11], v[28:29], v[10:11]
	v_add_f64 v[6:7], v[30:31], v[6:7]
	v_fma_f64 v[28:29], v[58:59], s[12:13], v[48:49]
	v_fma_f64 v[30:31], v[56:57], s[12:13], -v[46:47]
	v_add_f64 v[160:161], v[162:163], v[160:161]
	v_fma_f64 v[162:163], v[54:55], s[0:1], -v[196:197]
	v_add_f64 v[129:130], v[174:175], v[129:130]
	v_add_f64 v[44:45], v[52:53], v[44:45]
	v_fma_f64 v[48:49], v[64:65], s[16:17], v[85:86]
	v_mul_f64 v[52:53], v[68:69], s[40:41]
	v_add_f64 v[58:59], v[99:100], v[89:90]
	v_fma_f64 v[85:86], v[64:65], s[16:17], -v[85:86]
	v_fma_f64 v[99:100], v[64:65], s[10:11], v[60:61]
	v_mul_f64 v[68:69], v[68:69], s[14:15]
	v_add_f64 v[42:43], v[50:51], v[42:43]
	v_fma_f64 v[46:47], v[54:55], s[16:17], -v[83:84]
	v_mul_f64 v[50:51], v[66:67], s[40:41]
	v_add_f64 v[56:57], v[97:98], v[87:88]
	v_fma_f64 v[83:84], v[54:55], s[16:17], v[83:84]
	v_add_f64 v[87:88], v[105:106], v[101:102]
	v_add_f64 v[89:90], v[107:108], v[103:104]
	v_fma_f64 v[97:98], v[54:55], s[10:11], -v[62:63]
	v_mul_f64 v[66:67], v[66:67], s[14:15]
	v_add_f64 v[20:21], v[38:39], v[20:21]
	v_fma_f64 v[38:39], v[54:55], s[0:1], v[196:197]
	v_add_f64 v[10:11], v[28:29], v[10:11]
	v_add_f64 v[6:7], v[30:31], v[6:7]
	v_fma_f64 v[28:29], v[54:55], s[10:11], v[62:63]
	v_fma_f64 v[30:31], v[64:65], s[10:11], -v[60:61]
	v_add_f64 v[22:23], v[40:41], v[22:23]
	v_fma_f64 v[40:41], v[64:65], s[0:1], -v[198:199]
	v_add_f64 v[160:161], v[162:163], v[160:161]
	v_fma_f64 v[162:163], v[2:3], s[16:17], -v[182:183]
	v_fma_f64 v[174:175], v[81:82], s[16:17], v[184:185]
	v_mul_f64 v[200:201], v[93:94], s[36:37]
	v_mul_f64 v[202:203], v[91:92], s[36:37]
	v_add_f64 v[44:45], v[48:49], v[44:45]
	v_add_f64 v[42:43], v[46:47], v[42:43]
	v_fma_f64 v[46:47], v[2:3], s[0:1], -v[50:51]
	v_fma_f64 v[48:49], v[81:82], s[0:1], v[52:53]
	v_mul_f64 v[54:55], v[93:94], s[14:15]
	v_mul_f64 v[60:61], v[91:92], s[14:15]
	v_add_f64 v[56:57], v[83:84], v[56:57]
	v_add_f64 v[58:59], v[85:86], v[58:59]
	;; [unrolled: 1-line block ×4, first 2 shown]
	v_fma_f64 v[83:84], v[2:3], s[6:7], -v[66:67]
	v_fma_f64 v[85:86], v[81:82], s[6:7], v[68:69]
	v_mul_f64 v[87:88], v[93:94], s[48:49]
	v_mul_f64 v[89:90], v[91:92], s[48:49]
	v_add_f64 v[20:21], v[38:39], v[20:21]
	v_fma_f64 v[38:39], v[2:3], s[16:17], v[182:183]
	v_fma_f64 v[50:51], v[2:3], s[0:1], v[50:51]
	v_add_f64 v[10:11], v[28:29], v[10:11]
	v_add_f64 v[6:7], v[30:31], v[6:7]
	v_fma_f64 v[2:3], v[2:3], s[6:7], v[66:67]
	v_fma_f64 v[28:29], v[81:82], s[6:7], -v[68:69]
	v_fma_f64 v[52:53], v[81:82], s[0:1], -v[52:53]
	v_add_f64 v[22:23], v[40:41], v[22:23]
	v_fma_f64 v[40:41], v[81:82], s[16:17], -v[184:185]
	v_fma_f64 v[117:118], v[70:71], s[0:1], v[113:114]
	v_add_f64 v[142:143], v[156:157], v[142:143]
	v_fma_f64 v[156:157], v[70:71], s[12:13], v[127:128]
	v_add_f64 v[66:67], v[162:163], v[160:161]
	v_add_f64 v[68:69], v[174:175], v[129:130]
	v_fma_f64 v[81:82], v[79:80], s[10:11], -v[200:201]
	v_fma_f64 v[91:92], v[70:71], s[10:11], v[202:203]
	v_fma_f64 v[30:31], v[70:71], s[12:13], -v[127:128]
	v_add_f64 v[103:104], v[46:47], v[42:43]
	v_add_f64 v[105:106], v[48:49], v[44:45]
	v_fma_f64 v[107:108], v[79:80], s[6:7], -v[54:55]
	v_fma_f64 v[127:128], v[70:71], s[6:7], v[60:61]
	v_add_f64 v[62:63], v[83:84], v[62:63]
	v_add_f64 v[64:65], v[85:86], v[64:65]
	v_fma_f64 v[83:84], v[79:80], s[4:5], -v[87:88]
	v_fma_f64 v[85:86], v[70:71], s[4:5], v[89:90]
	v_fma_f64 v[99:100], v[79:80], s[10:11], v[200:201]
	;; [unrolled: 1-line block ×3, first 2 shown]
	v_add_f64 v[2:3], v[2:3], v[10:11]
	v_add_f64 v[6:7], v[28:29], v[6:7]
	v_fma_f64 v[10:11], v[79:80], s[4:5], v[87:88]
	v_fma_f64 v[79:80], v[70:71], s[4:5], -v[89:90]
	v_add_f64 v[56:57], v[50:51], v[56:57]
	v_add_f64 v[58:59], v[52:53], v[58:59]
	v_fma_f64 v[87:88], v[70:71], s[6:7], -v[60:61]
	v_add_f64 v[93:94], v[38:39], v[20:21]
	v_add_f64 v[97:98], v[40:41], v[22:23]
	v_fma_f64 v[101:102], v[70:71], s[10:11], -v[202:203]
	v_add_f64 v[89:90], v[180:181], v[119:120]
	v_fma_f64 v[70:71], v[70:71], s[0:1], -v[113:114]
	v_add_f64 v[38:39], v[117:118], v[115:116]
	v_add_f64 v[40:41], v[152:153], v[133:134]
	;; [unrolled: 1-line block ×8, first 2 shown]
	v_mov_b32_e32 v30, 4
	v_mov_b32_e32 v31, 0x1210
	v_add_f64 v[60:61], v[83:84], v[62:63]
	v_add_f64 v[62:63], v[85:86], v[64:65]
	;; [unrolled: 1-line block ×8, first 2 shown]
	v_lshlrev_b32_sdwa v68, v30, v77 dst_sel:DWORD dst_unused:UNUSED_PAD src0_sel:DWORD src1_sel:BYTE_0
	v_add_f64 v[50:51], v[101:102], v[97:98]
	v_mul_u32_u24_sdwa v69, v73, v31 dst_sel:DWORD dst_unused:UNUSED_PAD src0_sel:WORD_0 src1_sel:DWORD
	v_add_f64 v[28:29], v[186:187], v[146:147]
	v_add_f64 v[30:31], v[70:71], v[89:90]
	;; [unrolled: 1-line block ×5, first 2 shown]
	v_add3_u32 v68, 0, v69, v68
	ds_write_b128 v68, v[12:15]
	ds_write_b128 v68, v[16:19] offset:272
	ds_write_b128 v68, v[24:27] offset:544
	;; [unrolled: 1-line block ×16, first 2 shown]
	s_waitcnt lgkmcnt(0)
	s_barrier
	buffer_gl0_inv
	ds_read_b128 v[24:27], v139
	ds_read_b128 v[16:19], v136
	ds_read_b128 v[52:55], v139 offset:4624
	ds_read_b128 v[48:51], v139 offset:6256
	;; [unrolled: 1-line block ×10, first 2 shown]
	v_cmp_gt_u32_e64 s0, 0x55, v72
                                        ; implicit-def: $vgpr14_vgpr15
	s_and_saveexec_b32 s1, s0
	s_cbranch_execz .LBB0_15
; %bb.14:
	ds_read_b128 v[20:23], v135
	ds_read_b128 v[28:31], v139 offset:7888
	ds_read_b128 v[8:11], v139 offset:12512
	;; [unrolled: 1-line block ×5, first 2 shown]
.LBB0_15:
	s_or_b32 exec_lo, exec_lo, s1
	v_mul_u32_u24_e32 v73, 5, v72
	v_mov_b32_e32 v80, 0
	v_mul_i32_i24_e32 v79, 5, v76
	s_mov_b32 s4, 0xe8584caa
	s_mov_b32 s5, 0x3febb67a
	v_lshlrev_b32_e32 v73, 4, v73
	s_mov_b32 s7, 0xbfebb67a
	v_lshlrev_b64 v[85:86], 4, v[79:80]
	s_mov_b32 s6, s4
	v_add_co_u32 v73, s1, s8, v73
	v_add_co_ci_u32_e64 v77, null, s9, 0, s1
	v_add_co_u32 v109, s1, 0x1100, v73
	v_add_co_ci_u32_e64 v110, s1, 0, v77, s1
	v_add_co_u32 v97, s1, 0x1000, v73
	v_add_co_ci_u32_e64 v98, s1, 0, v77, s1
	v_add_co_u32 v73, s1, s8, v85
	global_load_dwordx4 v[81:84], v[109:110], off offset:32
	v_add_co_ci_u32_e64 v77, s1, s9, v86, s1
	global_load_dwordx4 v[85:88], v[97:98], off offset:320
	v_add_co_u32 v117, s1, 0x1100, v73
	v_add_co_ci_u32_e64 v118, s1, 0, v77, s1
	v_add_co_u32 v101, s1, 0x1000, v73
	v_add_co_ci_u32_e64 v102, s1, 0, v77, s1
	s_clause 0x7
	global_load_dwordx4 v[89:92], v[117:118], off offset:32
	global_load_dwordx4 v[93:96], v[101:102], off offset:320
	;; [unrolled: 1-line block ×8, first 2 shown]
	s_waitcnt vmcnt(0) lgkmcnt(0)
	s_barrier
	buffer_gl0_inv
	v_mul_f64 v[121:122], v[66:67], v[83:84]
	v_mul_f64 v[83:84], v[64:65], v[83:84]
	;; [unrolled: 1-line block ×10, first 2 shown]
	v_fma_f64 v[64:65], v[64:65], v[81:82], -v[121:122]
	v_fma_f64 v[66:67], v[66:67], v[81:82], v[83:84]
	v_mul_f64 v[81:82], v[50:51], v[103:104]
	v_fma_f64 v[70:71], v[70:71], v[85:86], v[123:124]
	v_fma_f64 v[68:69], v[68:69], v[85:86], -v[87:88]
	v_mul_f64 v[83:84], v[48:49], v[103:104]
	v_mul_f64 v[85:86], v[38:39], v[107:108]
	v_fma_f64 v[56:57], v[56:57], v[89:90], -v[125:126]
	v_fma_f64 v[58:59], v[58:59], v[89:90], v[91:92]
	v_fma_f64 v[62:63], v[62:63], v[93:94], v[127:128]
	v_fma_f64 v[60:61], v[60:61], v[93:94], -v[95:96]
	v_mul_f64 v[87:88], v[36:37], v[107:108]
	v_mul_f64 v[89:90], v[46:47], v[111:112]
	;; [unrolled: 1-line block ×3, first 2 shown]
	v_fma_f64 v[52:53], v[52:53], v[97:98], -v[129:130]
	v_fma_f64 v[54:55], v[54:55], v[97:98], v[99:100]
	v_mul_f64 v[97:98], v[34:35], v[115:116]
	v_mul_f64 v[99:100], v[32:33], v[115:116]
	;; [unrolled: 1-line block ×4, first 2 shown]
	v_fma_f64 v[48:49], v[48:49], v[101:102], -v[81:82]
	v_add_f64 v[93:94], v[66:67], v[70:71]
	v_add_f64 v[95:96], v[64:65], v[68:69]
	v_fma_f64 v[50:51], v[50:51], v[101:102], v[83:84]
	v_fma_f64 v[36:37], v[36:37], v[105:106], -v[85:86]
	v_add_f64 v[85:86], v[66:67], -v[70:71]
	v_add_f64 v[81:82], v[58:59], v[62:63]
	v_add_f64 v[83:84], v[56:57], v[60:61]
	v_fma_f64 v[38:39], v[38:39], v[105:106], v[87:88]
	v_fma_f64 v[44:45], v[44:45], v[109:110], -v[89:90]
	v_fma_f64 v[46:47], v[46:47], v[109:110], v[91:92]
	v_add_f64 v[87:88], v[64:65], -v[68:69]
	v_fma_f64 v[32:33], v[32:33], v[113:114], -v[97:98]
	v_fma_f64 v[34:35], v[34:35], v[113:114], v[99:100]
	v_fma_f64 v[40:41], v[40:41], v[117:118], -v[103:104]
	v_fma_f64 v[42:43], v[42:43], v[117:118], v[107:108]
	v_fma_f64 v[89:90], v[93:94], -0.5, v[54:55]
	v_fma_f64 v[91:92], v[95:96], -0.5, v[52:53]
	v_add_f64 v[93:94], v[58:59], -v[62:63]
	v_add_f64 v[95:96], v[56:57], -v[60:61]
	v_add_f64 v[99:100], v[24:25], v[36:37]
	v_add_f64 v[52:53], v[52:53], v[64:65]
	v_fma_f64 v[81:82], v[81:82], -0.5, v[50:51]
	v_fma_f64 v[83:84], v[83:84], -0.5, v[48:49]
	v_add_f64 v[54:55], v[54:55], v[66:67]
	v_add_f64 v[97:98], v[36:37], v[44:45]
	;; [unrolled: 1-line block ×3, first 2 shown]
	v_add_f64 v[103:104], v[38:39], -v[46:47]
	v_add_f64 v[38:39], v[26:27], v[38:39]
	v_add_f64 v[36:37], v[36:37], -v[44:45]
	v_add_f64 v[64:65], v[16:17], v[32:33]
	v_add_f64 v[66:67], v[18:19], v[34:35]
	;; [unrolled: 1-line block ×4, first 2 shown]
	v_fma_f64 v[105:106], v[87:88], s[6:7], v[89:90]
	v_fma_f64 v[107:108], v[85:86], s[6:7], v[91:92]
	;; [unrolled: 1-line block ×4, first 2 shown]
	v_add_f64 v[89:90], v[32:33], v[40:41]
	v_add_f64 v[91:92], v[34:35], v[42:43]
	v_fma_f64 v[109:110], v[95:96], s[6:7], v[81:82]
	v_fma_f64 v[111:112], v[93:94], s[6:7], v[83:84]
	;; [unrolled: 1-line block ×4, first 2 shown]
	v_fma_f64 v[24:25], v[97:98], -0.5, v[24:25]
	v_fma_f64 v[26:27], v[101:102], -0.5, v[26:27]
	v_add_f64 v[34:35], v[34:35], -v[42:43]
	v_add_f64 v[32:33], v[32:33], -v[40:41]
	v_add_f64 v[38:39], v[38:39], v[46:47]
	v_add_f64 v[44:45], v[99:100], v[44:45]
	v_add_f64 v[52:53], v[52:53], v[68:69]
	v_add_f64 v[54:55], v[54:55], v[70:71]
	v_add_f64 v[40:41], v[64:65], v[40:41]
	v_add_f64 v[42:43], v[66:67], v[42:43]
	v_add_f64 v[48:49], v[48:49], v[60:61]
	v_add_f64 v[50:51], v[50:51], v[62:63]
	v_mul_f64 v[56:57], v[105:106], s[4:5]
	v_mul_f64 v[58:59], v[107:108], -0.5
	v_mul_f64 v[93:94], v[85:86], s[6:7]
	v_mul_f64 v[95:96], v[87:88], -0.5
	v_fma_f64 v[16:17], v[89:90], -0.5, v[16:17]
	v_fma_f64 v[18:19], v[91:92], -0.5, v[18:19]
	v_mul_f64 v[46:47], v[109:110], s[4:5]
	v_mul_f64 v[89:90], v[111:112], -0.5
	v_mul_f64 v[91:92], v[83:84], s[6:7]
	v_mul_f64 v[97:98], v[81:82], -0.5
	v_fma_f64 v[60:61], v[103:104], s[4:5], v[24:25]
	v_fma_f64 v[64:65], v[36:37], s[6:7], v[26:27]
	;; [unrolled: 1-line block ×4, first 2 shown]
	v_add_f64 v[24:25], v[44:45], -v[52:53]
	v_add_f64 v[26:27], v[38:39], -v[54:55]
	;; [unrolled: 1-line block ×3, first 2 shown]
	v_fma_f64 v[56:57], v[85:86], 0.5, v[56:57]
	v_fma_f64 v[58:59], v[87:88], s[4:5], v[58:59]
	v_fma_f64 v[68:69], v[105:106], 0.5, v[93:94]
	v_fma_f64 v[70:71], v[107:108], s[6:7], v[95:96]
	v_fma_f64 v[85:86], v[34:35], s[4:5], v[16:17]
	;; [unrolled: 1-line block ×3, first 2 shown]
	v_fma_f64 v[83:84], v[83:84], 0.5, v[46:47]
	v_fma_f64 v[81:82], v[81:82], s[4:5], v[89:90]
	v_fma_f64 v[89:90], v[109:110], 0.5, v[91:92]
	v_fma_f64 v[87:88], v[34:35], s[6:7], v[16:17]
	v_fma_f64 v[95:96], v[32:33], s[4:5], v[18:19]
	;; [unrolled: 1-line block ×3, first 2 shown]
	v_add_f64 v[16:17], v[44:45], v[52:53]
	v_add_f64 v[18:19], v[38:39], v[54:55]
	;; [unrolled: 1-line block ×4, first 2 shown]
	v_add_f64 v[38:39], v[42:43], -v[50:51]
	v_add_f64 v[40:41], v[60:61], v[56:57]
	v_add_f64 v[44:45], v[62:63], v[58:59]
	;; [unrolled: 1-line block ×4, first 2 shown]
	v_add_f64 v[48:49], v[60:61], -v[56:57]
	v_add_f64 v[50:51], v[64:65], -v[68:69]
	;; [unrolled: 1-line block ×4, first 2 shown]
	v_add_f64 v[56:57], v[85:86], v[83:84]
	v_add_f64 v[58:59], v[93:94], v[89:90]
	;; [unrolled: 1-line block ×4, first 2 shown]
	v_add_f64 v[64:65], v[85:86], -v[83:84]
	v_add_f64 v[66:67], v[93:94], -v[89:90]
	;; [unrolled: 1-line block ×4, first 2 shown]
	ds_write_b128 v139, v[16:19]
	ds_write_b128 v139, v[24:27] offset:13872
	ds_write_b128 v139, v[40:43] offset:4624
	;; [unrolled: 1-line block ×5, first 2 shown]
	ds_write_b128 v136, v[32:35]
	ds_write_b128 v136, v[36:39] offset:13872
	ds_write_b128 v136, v[56:59] offset:4624
	;; [unrolled: 1-line block ×5, first 2 shown]
	s_and_saveexec_b32 s1, s0
	s_cbranch_execz .LBB0_17
; %bb.16:
	v_add_nc_u32_e32 v16, 0xffffffab, v72
	v_cndmask_b32_e64 v16, v16, v78, s0
	v_mul_i32_i24_e32 v79, 5, v16
	v_lshlrev_b64 v[16:17], 4, v[79:80]
	v_add_co_u32 v16, s0, s8, v16
	v_add_co_ci_u32_e64 v17, s0, s9, v17, s0
	v_add_co_u32 v40, s0, 0x1100, v16
	v_add_co_ci_u32_e64 v41, s0, 0, v17, s0
	;; [unrolled: 2-line block ×3, first 2 shown]
	s_clause 0x4
	global_load_dwordx4 v[16:19], v[40:41], off offset:32
	global_load_dwordx4 v[24:27], v[32:33], off offset:320
	;; [unrolled: 1-line block ×5, first 2 shown]
	s_waitcnt vmcnt(4)
	v_mul_f64 v[44:45], v[6:7], v[18:19]
	v_mul_f64 v[18:19], v[4:5], v[18:19]
	s_waitcnt vmcnt(3)
	v_mul_f64 v[46:47], v[12:13], v[26:27]
	v_mul_f64 v[26:27], v[14:15], v[26:27]
	;; [unrolled: 3-line block ×3, first 2 shown]
	v_fma_f64 v[4:5], v[4:5], v[16:17], -v[44:45]
	v_fma_f64 v[6:7], v[6:7], v[16:17], v[18:19]
	v_fma_f64 v[14:15], v[14:15], v[24:25], v[46:47]
	v_fma_f64 v[12:13], v[12:13], v[24:25], -v[26:27]
	s_waitcnt vmcnt(1)
	v_mul_f64 v[16:17], v[10:11], v[38:39]
	v_mul_f64 v[18:19], v[8:9], v[38:39]
	s_waitcnt vmcnt(0)
	v_mul_f64 v[24:25], v[0:1], v[42:43]
	v_fma_f64 v[26:27], v[28:29], v[32:33], -v[48:49]
	v_fma_f64 v[28:29], v[30:31], v[32:33], v[34:35]
	v_mul_f64 v[34:35], v[2:3], v[42:43]
	v_add_f64 v[30:31], v[6:7], v[14:15]
	v_add_f64 v[32:33], v[4:5], v[12:13]
	v_fma_f64 v[8:9], v[8:9], v[36:37], -v[16:17]
	v_fma_f64 v[10:11], v[10:11], v[36:37], v[18:19]
	v_fma_f64 v[2:3], v[2:3], v[40:41], v[24:25]
	v_add_f64 v[16:17], v[6:7], -v[14:15]
	v_add_f64 v[18:19], v[4:5], -v[12:13]
	v_fma_f64 v[0:1], v[0:1], v[40:41], -v[34:35]
	v_add_f64 v[6:7], v[28:29], v[6:7]
	v_add_f64 v[4:5], v[26:27], v[4:5]
	v_fma_f64 v[24:25], v[30:31], -0.5, v[28:29]
	v_fma_f64 v[30:31], v[32:33], -0.5, v[26:27]
	v_add_f64 v[32:33], v[10:11], v[2:3]
	v_add_f64 v[38:39], v[8:9], v[0:1]
	;; [unrolled: 1-line block ×4, first 2 shown]
	v_fma_f64 v[34:35], v[18:19], s[4:5], v[24:25]
	v_fma_f64 v[36:37], v[16:17], s[4:5], v[30:31]
	;; [unrolled: 1-line block ×4, first 2 shown]
	v_add_f64 v[24:25], v[8:9], -v[0:1]
	v_add_f64 v[30:31], v[22:23], v[10:11]
	v_add_f64 v[8:9], v[20:21], v[8:9]
	v_fma_f64 v[22:23], v[32:33], -0.5, v[22:23]
	v_add_f64 v[10:11], v[10:11], -v[2:3]
	v_fma_f64 v[20:21], v[38:39], -0.5, v[20:21]
	v_mul_f64 v[26:27], v[34:35], -0.5
	v_mul_f64 v[28:29], v[36:37], s[6:7]
	v_mul_f64 v[32:33], v[18:19], s[4:5]
	v_mul_f64 v[38:39], v[16:17], -0.5
	v_add_f64 v[30:31], v[30:31], v[2:3]
	v_add_f64 v[8:9], v[8:9], v[0:1]
	v_fma_f64 v[12:13], v[24:25], s[4:5], v[22:23]
	v_fma_f64 v[22:23], v[24:25], s[6:7], v[22:23]
	v_fma_f64 v[16:17], v[16:17], s[6:7], v[26:27]
	v_fma_f64 v[24:25], v[18:19], 0.5, v[28:29]
	v_fma_f64 v[28:29], v[10:11], s[4:5], v[20:21]
	v_fma_f64 v[32:33], v[36:37], 0.5, v[32:33]
	v_fma_f64 v[26:27], v[10:11], s[6:7], v[20:21]
	v_fma_f64 v[34:35], v[34:35], s[4:5], v[38:39]
	v_add_f64 v[2:3], v[30:31], -v[6:7]
	v_add_f64 v[0:1], v[8:9], -v[4:5]
	v_add_f64 v[6:7], v[30:31], v[6:7]
	v_add_f64 v[4:5], v[8:9], v[4:5]
	v_add_f64 v[10:11], v[12:13], -v[16:17]
	v_add_f64 v[14:15], v[22:23], -v[24:25]
	v_add_f64 v[22:23], v[22:23], v[24:25]
	v_add_f64 v[20:21], v[28:29], v[32:33]
	;; [unrolled: 1-line block ×4, first 2 shown]
	v_add_f64 v[12:13], v[28:29], -v[32:33]
	v_add_f64 v[8:9], v[26:27], -v[34:35]
	ds_write_b128 v139, v[4:7] offset:3264
	ds_write_b128 v139, v[0:3] offset:17136
	;; [unrolled: 1-line block ×6, first 2 shown]
.LBB0_17:
	s_or_b32 exec_lo, exec_lo, s1
	s_waitcnt lgkmcnt(0)
	s_barrier
	buffer_gl0_inv
	ds_read_b128 v[4:7], v139
	v_lshlrev_b32_e32 v0, 4, v72
	s_add_u32 s1, s8, 0x6b50
	s_addc_u32 s4, s9, 0
	s_mov_b32 s5, exec_lo
                                        ; implicit-def: $vgpr2_vgpr3
                                        ; implicit-def: $vgpr8_vgpr9
	v_sub_nc_u32_e32 v10, 0, v0
	v_cmpx_ne_u32_e32 0, v72
	s_xor_b32 s5, exec_lo, s5
	s_cbranch_execz .LBB0_19
; %bb.18:
	v_mov_b32_e32 v73, 0
	v_lshlrev_b64 v[0:1], 4, v[72:73]
	v_add_co_u32 v0, s0, s1, v0
	v_add_co_ci_u32_e64 v1, s0, s4, v1, s0
	global_load_dwordx4 v[11:14], v[0:1], off
	ds_read_b128 v[0:3], v10 offset:27744
	s_waitcnt lgkmcnt(0)
	v_add_f64 v[8:9], v[4:5], -v[0:1]
	v_add_f64 v[15:16], v[6:7], v[2:3]
	v_add_f64 v[2:3], v[6:7], -v[2:3]
	v_add_f64 v[0:1], v[4:5], v[0:1]
	v_mul_f64 v[6:7], v[8:9], 0.5
	v_mul_f64 v[4:5], v[15:16], 0.5
	;; [unrolled: 1-line block ×3, first 2 shown]
	s_waitcnt vmcnt(0)
	v_mul_f64 v[8:9], v[6:7], v[13:14]
	v_fma_f64 v[15:16], v[4:5], v[13:14], v[2:3]
	v_fma_f64 v[2:3], v[4:5], v[13:14], -v[2:3]
	v_fma_f64 v[17:18], v[0:1], 0.5, v[8:9]
	v_fma_f64 v[0:1], v[0:1], 0.5, -v[8:9]
	v_fma_f64 v[8:9], -v[11:12], v[6:7], v[15:16]
	v_fma_f64 v[2:3], -v[11:12], v[6:7], v[2:3]
	v_fma_f64 v[13:14], v[4:5], v[11:12], v[17:18]
	v_fma_f64 v[0:1], -v[4:5], v[11:12], v[0:1]
                                        ; implicit-def: $vgpr4_vgpr5
	ds_write_b64 v139, v[13:14]
.LBB0_19:
	s_andn2_saveexec_b32 s0, s5
	s_cbranch_execz .LBB0_21
; %bb.20:
	v_mov_b32_e32 v15, 0
	s_waitcnt lgkmcnt(0)
	v_add_f64 v[13:14], v[4:5], v[6:7]
	v_add_f64 v[0:1], v[4:5], -v[6:7]
	v_mov_b32_e32 v8, 0
	v_mov_b32_e32 v9, 0
	ds_read_b64 v[11:12], v15 offset:13880
	v_mov_b32_e32 v2, v8
	v_mov_b32_e32 v3, v9
	s_waitcnt lgkmcnt(0)
	v_xor_b32_e32 v12, 0x80000000, v12
	ds_write_b64 v139, v[13:14]
	ds_write_b64 v15, v[11:12] offset:13880
.LBB0_21:
	s_or_b32 exec_lo, exec_lo, s0
	v_mov_b32_e32 v77, 0
	ds_write_b64 v139, v[8:9] offset:8
	ds_write_b128 v10, v[0:3] offset:27744
	s_mov_b32 s5, exec_lo
	s_waitcnt lgkmcnt(2)
	v_lshlrev_b64 v[4:5], 4, v[76:77]
	v_mov_b32_e32 v79, v77
	v_add_nc_u32_e32 v76, 0x132, v72
	v_lshlrev_b64 v[11:12], 4, v[78:79]
	v_add_co_u32 v4, s0, s1, v4
	v_add_co_ci_u32_e64 v5, s0, s4, v5, s0
	v_lshlrev_b64 v[8:9], 4, v[76:77]
	v_add_co_u32 v11, s0, s1, v11
	global_load_dwordx4 v[4:7], v[4:5], off
	v_add_co_ci_u32_e64 v12, s0, s4, v12, s0
	v_add_co_u32 v8, s0, s1, v8
	v_add_co_ci_u32_e64 v9, s0, s4, v9, s0
	global_load_dwordx4 v[11:14], v[11:12], off
	ds_read_b128 v[0:3], v136
	ds_read_b128 v[15:18], v10 offset:26112
	v_add_nc_u32_e32 v76, 0x198, v72
	global_load_dwordx4 v[19:22], v[8:9], off
	s_waitcnt lgkmcnt(0)
	v_add_f64 v[8:9], v[0:1], -v[15:16]
	v_add_f64 v[23:24], v[2:3], v[17:18]
	v_add_f64 v[2:3], v[2:3], -v[17:18]
	v_add_f64 v[0:1], v[0:1], v[15:16]
	v_mul_f64 v[8:9], v[8:9], 0.5
	v_mul_f64 v[17:18], v[23:24], 0.5
	v_mul_f64 v[2:3], v[2:3], 0.5
	s_waitcnt vmcnt(2)
	v_mul_f64 v[15:16], v[8:9], v[6:7]
	v_fma_f64 v[23:24], v[17:18], v[6:7], v[2:3]
	v_fma_f64 v[6:7], v[17:18], v[6:7], -v[2:3]
	v_fma_f64 v[25:26], v[0:1], 0.5, v[15:16]
	v_fma_f64 v[15:16], v[0:1], 0.5, -v[15:16]
	v_fma_f64 v[2:3], -v[4:5], v[8:9], v[23:24]
	v_fma_f64 v[6:7], -v[4:5], v[8:9], v[6:7]
	v_lshlrev_b64 v[8:9], 4, v[76:77]
	v_add_nc_u32_e32 v76, 0x1fe, v72
	v_add_co_u32 v8, s0, s1, v8
	v_add_co_ci_u32_e64 v9, s0, s4, v9, s0
	v_fma_f64 v[0:1], v[17:18], v[4:5], v[25:26]
	v_fma_f64 v[4:5], -v[17:18], v[4:5], v[15:16]
	ds_write_b128 v136, v[0:3]
	ds_write_b128 v10, v[4:7] offset:26112
	ds_read_b128 v[0:3], v135
	ds_read_b128 v[4:7], v10 offset:24480
	global_load_dwordx4 v[15:18], v[8:9], off
	s_waitcnt lgkmcnt(0)
	v_add_f64 v[8:9], v[0:1], -v[4:5]
	v_add_f64 v[23:24], v[2:3], v[6:7]
	v_add_f64 v[2:3], v[2:3], -v[6:7]
	v_add_f64 v[0:1], v[0:1], v[4:5]
	v_mul_f64 v[6:7], v[8:9], 0.5
	v_mul_f64 v[8:9], v[23:24], 0.5
	;; [unrolled: 1-line block ×3, first 2 shown]
	s_waitcnt vmcnt(2)
	v_mul_f64 v[4:5], v[6:7], v[13:14]
	v_fma_f64 v[23:24], v[8:9], v[13:14], v[2:3]
	v_fma_f64 v[13:14], v[8:9], v[13:14], -v[2:3]
	v_fma_f64 v[25:26], v[0:1], 0.5, v[4:5]
	v_fma_f64 v[4:5], v[0:1], 0.5, -v[4:5]
	v_fma_f64 v[2:3], -v[11:12], v[6:7], v[23:24]
	v_fma_f64 v[6:7], -v[11:12], v[6:7], v[13:14]
	v_fma_f64 v[0:1], v[8:9], v[11:12], v[25:26]
	v_fma_f64 v[4:5], -v[8:9], v[11:12], v[4:5]
	v_lshlrev_b64 v[8:9], 4, v[76:77]
	v_add_nc_u32_e32 v76, 0x264, v72
	ds_write_b128 v135, v[0:3]
	ds_write_b128 v10, v[4:7] offset:24480
	v_add_co_u32 v8, s0, s1, v8
	ds_read_b128 v[0:3], v139 offset:4896
	ds_read_b128 v[4:7], v10 offset:22848
	v_add_co_ci_u32_e64 v9, s0, s4, v9, s0
	global_load_dwordx4 v[11:14], v[8:9], off
	s_waitcnt lgkmcnt(0)
	v_add_f64 v[8:9], v[0:1], -v[4:5]
	v_add_f64 v[23:24], v[2:3], v[6:7]
	v_add_f64 v[2:3], v[2:3], -v[6:7]
	v_add_f64 v[0:1], v[0:1], v[4:5]
	v_mul_f64 v[6:7], v[8:9], 0.5
	v_mul_f64 v[8:9], v[23:24], 0.5
	;; [unrolled: 1-line block ×3, first 2 shown]
	s_waitcnt vmcnt(2)
	v_mul_f64 v[4:5], v[6:7], v[21:22]
	v_fma_f64 v[23:24], v[8:9], v[21:22], v[2:3]
	v_fma_f64 v[21:22], v[8:9], v[21:22], -v[2:3]
	v_fma_f64 v[25:26], v[0:1], 0.5, v[4:5]
	v_fma_f64 v[4:5], v[0:1], 0.5, -v[4:5]
	v_fma_f64 v[2:3], -v[19:20], v[6:7], v[23:24]
	v_fma_f64 v[6:7], -v[19:20], v[6:7], v[21:22]
	v_fma_f64 v[0:1], v[8:9], v[19:20], v[25:26]
	v_fma_f64 v[4:5], -v[8:9], v[19:20], v[4:5]
	v_lshlrev_b64 v[8:9], 4, v[76:77]
	v_add_nc_u32_e32 v76, 0x2ca, v72
	ds_write_b128 v139, v[0:3] offset:4896
	ds_write_b128 v10, v[4:7] offset:22848
	v_add_co_u32 v8, s0, s1, v8
	ds_read_b128 v[0:3], v139 offset:6528
	ds_read_b128 v[4:7], v10 offset:21216
	v_add_co_ci_u32_e64 v9, s0, s4, v9, s0
	global_load_dwordx4 v[19:22], v[8:9], off
	s_waitcnt lgkmcnt(0)
	v_add_f64 v[8:9], v[0:1], -v[4:5]
	v_add_f64 v[23:24], v[2:3], v[6:7]
	v_add_f64 v[2:3], v[2:3], -v[6:7]
	v_add_f64 v[0:1], v[0:1], v[4:5]
	v_mul_f64 v[6:7], v[8:9], 0.5
	v_mul_f64 v[8:9], v[23:24], 0.5
	;; [unrolled: 1-line block ×3, first 2 shown]
	s_waitcnt vmcnt(2)
	v_mul_f64 v[4:5], v[6:7], v[17:18]
	v_fma_f64 v[23:24], v[8:9], v[17:18], v[2:3]
	v_fma_f64 v[17:18], v[8:9], v[17:18], -v[2:3]
	v_fma_f64 v[25:26], v[0:1], 0.5, v[4:5]
	v_fma_f64 v[4:5], v[0:1], 0.5, -v[4:5]
	v_fma_f64 v[2:3], -v[15:16], v[6:7], v[23:24]
	v_fma_f64 v[6:7], -v[15:16], v[6:7], v[17:18]
	v_fma_f64 v[0:1], v[8:9], v[15:16], v[25:26]
	v_fma_f64 v[4:5], -v[8:9], v[15:16], v[4:5]
	v_lshlrev_b64 v[8:9], 4, v[76:77]
	ds_write_b128 v139, v[0:3] offset:6528
	ds_write_b128 v10, v[4:7] offset:21216
	v_add_co_u32 v8, s0, s1, v8
	ds_read_b128 v[0:3], v139 offset:8160
	ds_read_b128 v[4:7], v10 offset:19584
	v_add_co_ci_u32_e64 v9, s0, s4, v9, s0
	global_load_dwordx4 v[15:18], v[8:9], off
	s_waitcnt lgkmcnt(0)
	v_add_f64 v[8:9], v[0:1], -v[4:5]
	v_add_f64 v[23:24], v[2:3], v[6:7]
	v_add_f64 v[2:3], v[2:3], -v[6:7]
	v_add_f64 v[0:1], v[0:1], v[4:5]
	v_mul_f64 v[6:7], v[8:9], 0.5
	v_mul_f64 v[8:9], v[23:24], 0.5
	;; [unrolled: 1-line block ×3, first 2 shown]
	s_waitcnt vmcnt(2)
	v_mul_f64 v[4:5], v[6:7], v[13:14]
	v_fma_f64 v[23:24], v[8:9], v[13:14], v[2:3]
	v_fma_f64 v[13:14], v[8:9], v[13:14], -v[2:3]
	v_fma_f64 v[25:26], v[0:1], 0.5, v[4:5]
	v_fma_f64 v[4:5], v[0:1], 0.5, -v[4:5]
	v_fma_f64 v[2:3], -v[11:12], v[6:7], v[23:24]
	v_fma_f64 v[6:7], -v[11:12], v[6:7], v[13:14]
	v_fma_f64 v[0:1], v[8:9], v[11:12], v[25:26]
	v_fma_f64 v[4:5], -v[8:9], v[11:12], v[4:5]
	ds_write_b128 v139, v[0:3] offset:8160
	ds_write_b128 v10, v[4:7] offset:19584
	ds_read_b128 v[0:3], v139 offset:9792
	ds_read_b128 v[4:7], v10 offset:17952
	s_waitcnt lgkmcnt(0)
	v_add_f64 v[8:9], v[0:1], -v[4:5]
	v_add_f64 v[11:12], v[2:3], v[6:7]
	v_add_f64 v[2:3], v[2:3], -v[6:7]
	v_add_f64 v[0:1], v[0:1], v[4:5]
	v_mul_f64 v[6:7], v[8:9], 0.5
	v_mul_f64 v[8:9], v[11:12], 0.5
	;; [unrolled: 1-line block ×3, first 2 shown]
	s_waitcnt vmcnt(1)
	v_mul_f64 v[4:5], v[6:7], v[21:22]
	v_fma_f64 v[11:12], v[8:9], v[21:22], v[2:3]
	v_fma_f64 v[13:14], v[8:9], v[21:22], -v[2:3]
	v_fma_f64 v[21:22], v[0:1], 0.5, v[4:5]
	v_fma_f64 v[4:5], v[0:1], 0.5, -v[4:5]
	v_fma_f64 v[2:3], -v[19:20], v[6:7], v[11:12]
	v_fma_f64 v[6:7], -v[19:20], v[6:7], v[13:14]
	v_fma_f64 v[0:1], v[8:9], v[19:20], v[21:22]
	v_fma_f64 v[4:5], -v[8:9], v[19:20], v[4:5]
	ds_write_b128 v139, v[0:3] offset:9792
	ds_write_b128 v10, v[4:7] offset:17952
	ds_read_b128 v[0:3], v139 offset:11424
	ds_read_b128 v[4:7], v10 offset:16320
	s_waitcnt lgkmcnt(0)
	v_add_f64 v[8:9], v[0:1], -v[4:5]
	v_add_f64 v[11:12], v[2:3], v[6:7]
	v_add_f64 v[2:3], v[2:3], -v[6:7]
	v_add_f64 v[0:1], v[0:1], v[4:5]
	v_mul_f64 v[6:7], v[8:9], 0.5
	v_mul_f64 v[8:9], v[11:12], 0.5
	;; [unrolled: 1-line block ×3, first 2 shown]
	s_waitcnt vmcnt(0)
	v_mul_f64 v[4:5], v[6:7], v[17:18]
	v_fma_f64 v[11:12], v[8:9], v[17:18], v[2:3]
	v_fma_f64 v[13:14], v[8:9], v[17:18], -v[2:3]
	v_fma_f64 v[17:18], v[0:1], 0.5, v[4:5]
	v_fma_f64 v[4:5], v[0:1], 0.5, -v[4:5]
	v_fma_f64 v[2:3], -v[15:16], v[6:7], v[11:12]
	v_fma_f64 v[6:7], -v[15:16], v[6:7], v[13:14]
	v_fma_f64 v[0:1], v[8:9], v[15:16], v[17:18]
	v_fma_f64 v[4:5], -v[8:9], v[15:16], v[4:5]
	ds_write_b128 v139, v[0:3] offset:11424
	ds_write_b128 v10, v[4:7] offset:16320
	v_cmpx_gt_u32_e32 51, v72
	s_cbranch_execz .LBB0_23
; %bb.22:
	v_add_nc_u32_e32 v76, 0x330, v72
	v_lshlrev_b64 v[0:1], 4, v[76:77]
	v_add_co_u32 v0, s0, s1, v0
	v_add_co_ci_u32_e64 v1, s0, s4, v1, s0
	global_load_dwordx4 v[0:3], v[0:1], off
	ds_read_b128 v[4:7], v139 offset:13056
	ds_read_b128 v[11:14], v10 offset:14688
	s_waitcnt lgkmcnt(0)
	v_add_f64 v[8:9], v[4:5], -v[11:12]
	v_add_f64 v[15:16], v[6:7], v[13:14]
	v_add_f64 v[6:7], v[6:7], -v[13:14]
	v_add_f64 v[4:5], v[4:5], v[11:12]
	v_mul_f64 v[8:9], v[8:9], 0.5
	v_mul_f64 v[13:14], v[15:16], 0.5
	;; [unrolled: 1-line block ×3, first 2 shown]
	s_waitcnt vmcnt(0)
	v_mul_f64 v[11:12], v[8:9], v[2:3]
	v_fma_f64 v[15:16], v[13:14], v[2:3], v[6:7]
	v_fma_f64 v[2:3], v[13:14], v[2:3], -v[6:7]
	v_fma_f64 v[6:7], v[4:5], 0.5, v[11:12]
	v_fma_f64 v[11:12], v[4:5], 0.5, -v[11:12]
	v_fma_f64 v[4:5], -v[0:1], v[8:9], v[15:16]
	v_fma_f64 v[8:9], -v[0:1], v[8:9], v[2:3]
	v_fma_f64 v[2:3], v[13:14], v[0:1], v[6:7]
	v_fma_f64 v[6:7], -v[13:14], v[0:1], v[11:12]
	ds_write_b128 v139, v[2:5] offset:13056
	ds_write_b128 v10, v[6:9] offset:14688
.LBB0_23:
	s_or_b32 exec_lo, exec_lo, s5
	s_waitcnt lgkmcnt(0)
	s_barrier
	buffer_gl0_inv
	s_and_saveexec_b32 s0, vcc_lo
	s_cbranch_execz .LBB0_26
; %bb.24:
	ds_read_b128 v[2:5], v139
	v_mov_b32_e32 v73, 0
	v_add_co_u32 v0, vcc_lo, s2, v74
	v_add_co_ci_u32_e32 v1, vcc_lo, s3, v75, vcc_lo
	v_lshlrev_b64 v[22:23], 4, v[72:73]
	ds_read_b128 v[6:9], v139 offset:1632
	ds_read_b128 v[10:13], v139 offset:3264
	;; [unrolled: 1-line block ×4, first 2 shown]
	v_add_co_u32 v34, vcc_lo, v0, v22
	v_add_co_ci_u32_e32 v35, vcc_lo, v1, v23, vcc_lo
	v_add_co_u32 v22, vcc_lo, 0x800, v34
	v_add_co_ci_u32_e32 v23, vcc_lo, 0, v35, vcc_lo
	s_waitcnt lgkmcnt(4)
	global_store_dwordx4 v[34:35], v[2:5], off
	v_add_co_u32 v2, vcc_lo, 0x1000, v34
	v_add_co_ci_u32_e32 v3, vcc_lo, 0, v35, vcc_lo
	v_add_co_u32 v36, vcc_lo, 0x1800, v34
	v_add_co_ci_u32_e32 v37, vcc_lo, 0, v35, vcc_lo
	s_waitcnt lgkmcnt(3)
	global_store_dwordx4 v[34:35], v[6:9], off offset:1632
	s_waitcnt lgkmcnt(2)
	global_store_dwordx4 v[22:23], v[10:13], off offset:1216
	;; [unrolled: 2-line block ×3, first 2 shown]
	ds_read_b128 v[2:5], v139 offset:8160
	v_add_co_u32 v38, vcc_lo, 0x2000, v34
	s_waitcnt lgkmcnt(1)
	global_store_dwordx4 v[36:37], v[18:21], off offset:384
	ds_read_b128 v[6:9], v139 offset:9792
	ds_read_b128 v[10:13], v139 offset:11424
	;; [unrolled: 1-line block ×7, first 2 shown]
	v_add_co_ci_u32_e32 v39, vcc_lo, 0, v35, vcc_lo
	v_add_co_u32 v40, vcc_lo, 0x2800, v34
	v_add_co_ci_u32_e32 v41, vcc_lo, 0, v35, vcc_lo
	v_add_co_u32 v42, vcc_lo, 0x3000, v34
	;; [unrolled: 2-line block ×3, first 2 shown]
	v_add_co_ci_u32_e32 v45, vcc_lo, 0, v35, vcc_lo
	s_waitcnt lgkmcnt(7)
	global_store_dwordx4 v[36:37], v[2:5], off offset:2016
	s_waitcnt lgkmcnt(6)
	global_store_dwordx4 v[38:39], v[6:9], off offset:1600
	;; [unrolled: 2-line block ×5, first 2 shown]
	v_add_co_u32 v18, vcc_lo, 0x4000, v34
	v_add_co_ci_u32_e32 v19, vcc_lo, 0, v35, vcc_lo
	ds_read_b128 v[2:5], v139 offset:21216
	ds_read_b128 v[6:9], v139 offset:22848
	;; [unrolled: 1-line block ×4, first 2 shown]
	v_add_co_u32 v20, vcc_lo, 0x4800, v34
	v_add_co_ci_u32_e32 v21, vcc_lo, 0, v35, vcc_lo
	s_waitcnt lgkmcnt(6)
	global_store_dwordx4 v[44:45], v[22:25], off offset:1984
	s_waitcnt lgkmcnt(5)
	global_store_dwordx4 v[18:19], v[26:29], off offset:1568
	;; [unrolled: 2-line block ×3, first 2 shown]
	v_add_co_u32 v18, vcc_lo, 0x5000, v34
	v_add_co_ci_u32_e32 v19, vcc_lo, 0, v35, vcc_lo
	v_add_co_u32 v20, vcc_lo, 0x5800, v34
	v_add_co_ci_u32_e32 v21, vcc_lo, 0, v35, vcc_lo
	;; [unrolled: 2-line block ×3, first 2 shown]
	v_cmp_eq_u32_e32 vcc_lo, 0x65, v72
	s_waitcnt lgkmcnt(3)
	global_store_dwordx4 v[18:19], v[2:5], off offset:736
	s_waitcnt lgkmcnt(2)
	global_store_dwordx4 v[20:21], v[6:9], off offset:320
	;; [unrolled: 2-line block ×4, first 2 shown]
	s_and_b32 exec_lo, exec_lo, vcc_lo
	s_cbranch_execz .LBB0_26
; %bb.25:
	ds_read_b128 v[2:5], v73 offset:27744
	v_add_co_u32 v0, vcc_lo, 0x6800, v0
	v_add_co_ci_u32_e32 v1, vcc_lo, 0, v1, vcc_lo
	s_waitcnt lgkmcnt(0)
	global_store_dwordx4 v[0:1], v[2:5], off offset:1120
.LBB0_26:
	s_endpgm
	.section	.rodata,"a",@progbits
	.p2align	6, 0x0
	.amdhsa_kernel fft_rtc_fwd_len1734_factors_17_17_6_wgs_102_tpt_102_halfLds_dp_ip_CI_unitstride_sbrr_R2C_dirReg
		.amdhsa_group_segment_fixed_size 0
		.amdhsa_private_segment_fixed_size 0
		.amdhsa_kernarg_size 88
		.amdhsa_user_sgpr_count 6
		.amdhsa_user_sgpr_private_segment_buffer 1
		.amdhsa_user_sgpr_dispatch_ptr 0
		.amdhsa_user_sgpr_queue_ptr 0
		.amdhsa_user_sgpr_kernarg_segment_ptr 1
		.amdhsa_user_sgpr_dispatch_id 0
		.amdhsa_user_sgpr_flat_scratch_init 0
		.amdhsa_user_sgpr_private_segment_size 0
		.amdhsa_wavefront_size32 1
		.amdhsa_uses_dynamic_stack 0
		.amdhsa_system_sgpr_private_segment_wavefront_offset 0
		.amdhsa_system_sgpr_workgroup_id_x 1
		.amdhsa_system_sgpr_workgroup_id_y 0
		.amdhsa_system_sgpr_workgroup_id_z 0
		.amdhsa_system_sgpr_workgroup_info 0
		.amdhsa_system_vgpr_workitem_id 0
		.amdhsa_next_free_vgpr 254
		.amdhsa_next_free_sgpr 54
		.amdhsa_reserve_vcc 1
		.amdhsa_reserve_flat_scratch 0
		.amdhsa_float_round_mode_32 0
		.amdhsa_float_round_mode_16_64 0
		.amdhsa_float_denorm_mode_32 3
		.amdhsa_float_denorm_mode_16_64 3
		.amdhsa_dx10_clamp 1
		.amdhsa_ieee_mode 1
		.amdhsa_fp16_overflow 0
		.amdhsa_workgroup_processor_mode 1
		.amdhsa_memory_ordered 1
		.amdhsa_forward_progress 0
		.amdhsa_shared_vgpr_count 0
		.amdhsa_exception_fp_ieee_invalid_op 0
		.amdhsa_exception_fp_denorm_src 0
		.amdhsa_exception_fp_ieee_div_zero 0
		.amdhsa_exception_fp_ieee_overflow 0
		.amdhsa_exception_fp_ieee_underflow 0
		.amdhsa_exception_fp_ieee_inexact 0
		.amdhsa_exception_int_div_zero 0
	.end_amdhsa_kernel
	.text
.Lfunc_end0:
	.size	fft_rtc_fwd_len1734_factors_17_17_6_wgs_102_tpt_102_halfLds_dp_ip_CI_unitstride_sbrr_R2C_dirReg, .Lfunc_end0-fft_rtc_fwd_len1734_factors_17_17_6_wgs_102_tpt_102_halfLds_dp_ip_CI_unitstride_sbrr_R2C_dirReg
                                        ; -- End function
	.section	.AMDGPU.csdata,"",@progbits
; Kernel info:
; codeLenInByte = 19944
; NumSgprs: 56
; NumVgprs: 254
; ScratchSize: 0
; MemoryBound: 0
; FloatMode: 240
; IeeeMode: 1
; LDSByteSize: 0 bytes/workgroup (compile time only)
; SGPRBlocks: 6
; VGPRBlocks: 31
; NumSGPRsForWavesPerEU: 56
; NumVGPRsForWavesPerEU: 254
; Occupancy: 4
; WaveLimiterHint : 1
; COMPUTE_PGM_RSRC2:SCRATCH_EN: 0
; COMPUTE_PGM_RSRC2:USER_SGPR: 6
; COMPUTE_PGM_RSRC2:TRAP_HANDLER: 0
; COMPUTE_PGM_RSRC2:TGID_X_EN: 1
; COMPUTE_PGM_RSRC2:TGID_Y_EN: 0
; COMPUTE_PGM_RSRC2:TGID_Z_EN: 0
; COMPUTE_PGM_RSRC2:TIDIG_COMP_CNT: 0
	.text
	.p2alignl 6, 3214868480
	.fill 48, 4, 3214868480
	.type	__hip_cuid_1c1c1b7c58ca6220,@object ; @__hip_cuid_1c1c1b7c58ca6220
	.section	.bss,"aw",@nobits
	.globl	__hip_cuid_1c1c1b7c58ca6220
__hip_cuid_1c1c1b7c58ca6220:
	.byte	0                               ; 0x0
	.size	__hip_cuid_1c1c1b7c58ca6220, 1

	.ident	"AMD clang version 19.0.0git (https://github.com/RadeonOpenCompute/llvm-project roc-6.4.0 25133 c7fe45cf4b819c5991fe208aaa96edf142730f1d)"
	.section	".note.GNU-stack","",@progbits
	.addrsig
	.addrsig_sym __hip_cuid_1c1c1b7c58ca6220
	.amdgpu_metadata
---
amdhsa.kernels:
  - .args:
      - .actual_access:  read_only
        .address_space:  global
        .offset:         0
        .size:           8
        .value_kind:     global_buffer
      - .offset:         8
        .size:           8
        .value_kind:     by_value
      - .actual_access:  read_only
        .address_space:  global
        .offset:         16
        .size:           8
        .value_kind:     global_buffer
      - .actual_access:  read_only
        .address_space:  global
        .offset:         24
        .size:           8
        .value_kind:     global_buffer
      - .offset:         32
        .size:           8
        .value_kind:     by_value
      - .actual_access:  read_only
        .address_space:  global
        .offset:         40
        .size:           8
        .value_kind:     global_buffer
      - .actual_access:  read_only
        .address_space:  global
        .offset:         48
        .size:           8
        .value_kind:     global_buffer
      - .offset:         56
        .size:           4
        .value_kind:     by_value
      - .actual_access:  read_only
        .address_space:  global
        .offset:         64
        .size:           8
        .value_kind:     global_buffer
      - .actual_access:  read_only
        .address_space:  global
        .offset:         72
        .size:           8
        .value_kind:     global_buffer
      - .address_space:  global
        .offset:         80
        .size:           8
        .value_kind:     global_buffer
    .group_segment_fixed_size: 0
    .kernarg_segment_align: 8
    .kernarg_segment_size: 88
    .language:       OpenCL C
    .language_version:
      - 2
      - 0
    .max_flat_workgroup_size: 102
    .name:           fft_rtc_fwd_len1734_factors_17_17_6_wgs_102_tpt_102_halfLds_dp_ip_CI_unitstride_sbrr_R2C_dirReg
    .private_segment_fixed_size: 0
    .sgpr_count:     56
    .sgpr_spill_count: 0
    .symbol:         fft_rtc_fwd_len1734_factors_17_17_6_wgs_102_tpt_102_halfLds_dp_ip_CI_unitstride_sbrr_R2C_dirReg.kd
    .uniform_work_group_size: 1
    .uses_dynamic_stack: false
    .vgpr_count:     254
    .vgpr_spill_count: 0
    .wavefront_size: 32
    .workgroup_processor_mode: 1
amdhsa.target:   amdgcn-amd-amdhsa--gfx1030
amdhsa.version:
  - 1
  - 2
...

	.end_amdgpu_metadata
